;; amdgpu-corpus repo=ROCm/aiter kind=harvested arch=n/a opt=n/a

/root/src/amdgpu-assembly/repos/ROCm__aiter/hsa/gfx950/fmoe_2stages/fmoe_stage1_bf16_pertokenFp8_doweight_g1u1_80x256_pf2.co:	file format elf64-amdgpu

Disassembly of section .text:

0000000000002a00 <_ZN5aiter53fmoe_stage1_bf16_pertokenFp8_doweight_g1u1_80x256_pf2E>:
	s_and_b32 s1, s1, 0xffff                                   // 000000002A00: 8601FF01 0000FFFF
	s_load_dwordx2 s[8:9], s[0:1], 0x0                         // 000000002A08: C0060200 00000000
	s_load_dwordx2 s[20:21], s[0:1], 0x10                      // 000000002A10: C0060500 00000010
	s_load_dwordx2 s[24:25], s[0:1], 0x20                      // 000000002A18: C0060600 00000020
	s_load_dwordx2 s[48:49], s[0:1], 0x30                      // 000000002A20: C0060C00 00000030
	s_load_dwordx2 s[28:29], s[0:1], 0x40                      // 000000002A28: C0060700 00000040
	s_load_dwordx2 s[32:33], s[0:1], 0x50                      // 000000002A30: C0060800 00000050
	s_load_dwordx2 s[36:37], s[0:1], 0x60                      // 000000002A38: C0060900 00000060
	s_load_dwordx2 s[12:13], s[0:1], 0x70                      // 000000002A40: C0060300 00000070
	s_load_dwordx2 s[44:45], s[0:1], 0x80                      // 000000002A48: C0060B00 00000080
	s_mov_b32 s89, 0                                           // 000000002A50: BED90080
	s_load_dword s64, s[0:1], 0x90                             // 000000002A54: C0021000 00000090
	s_load_dword s65, s[0:1], 0xa0                             // 000000002A5C: C0021040 000000A0
	s_load_dword s66, s[0:1], 0xb0                             // 000000002A64: C0021080 000000B0
	s_load_dword s67, s[0:1], 0xc0                             // 000000002A6C: C00210C0 000000C0
	s_load_dword s68, s[0:1], 0xd0                             // 000000002A74: C0021100 000000D0
	s_load_dword s69, s[0:1], 0xe0                             // 000000002A7C: C0021140 000000E0
	s_load_dword s71, s[0:1], 0xf0                             // 000000002A84: C00211C0 000000F0
	s_load_dword s72, s[0:1], 0x100                            // 000000002A8C: C0021200 00000100
	s_load_dword s74, s[0:1], 0x110                            // 000000002A94: C0021280 00000110
	s_load_dword s76, s[0:1], 0x120                            // 000000002A9C: C0021300 00000120
	s_load_dword s56, s[0:1], 0x130                            // 000000002AA4: C0020E00 00000130
	s_load_dword s88, s[0:1], 0x140                            // 000000002AAC: C0021600 00000140
	s_load_dword s89, s[0:1], 0x150                            // 000000002AB4: C0021640 00000150
	s_load_dwordx2 s[40:41], s[0:1], 0x160                     // 000000002ABC: C0060A00 00000160
	v_lshrrev_b32_e32 v1, 10, v0                               // 000000002AC4: 2002008A
	v_lshrrev_b32_e32 v2, 10, v1                               // 000000002AC8: 2004028A
	v_and_b32_e32 v2, 0x3ff, v2                                // 000000002ACC: 260404FF 000003FF
	v_and_b32_e32 v1, 0x3ff, v1                                // 000000002AD4: 260202FF 000003FF
	v_and_b32_e32 v0, 0x3ff, v0                                // 000000002ADC: 260000FF 000003FF
	v_lshrrev_b32_e32 v3, 6, v0                                // 000000002AE4: 20060086
	v_and_b32_e32 v0, 63, v0                                   // 000000002AE8: 260000BF
	s_mov_b32 s2, s2                                           // 000000002AEC: BE820002
	s_mov_b32 s3, s3                                           // 000000002AF0: BE830003
	s_mov_b32 s4, s4                                           // 000000002AF4: BE840004
	v_readfirstlane_b32 s7, v3                                 // 000000002AF8: 7E0E0503
	s_waitcnt lgkmcnt(0)                                       // 000000002AFC: BF8CC07F
	s_and_b32 s49, s49, 0xffff                                 // 000000002B00: 8631FF31 0000FFFF
	s_load_dword s48, s[48:49], 0x0                            // 000000002B08: C0020C18 00000000
	s_and_b32 s45, s45, 0xffff                                 // 000000002B10: 862DFF2D 0000FFFF
	s_and_b32 s9, s9, 0xffff                                   // 000000002B18: 8609FF09 0000FFFF
	s_mul_i32 s60, s66, s68                                    // 000000002B20: 923C4442
	s_mul_i32 s61, s66, 4                                      // 000000002B24: 923D8442
	s_mov_b32 s22, s60                                         // 000000002B28: BE96003C
	s_mov_b32 s26, -16                                         // 000000002B2C: BE9A00D0
	s_mov_b32 s30, s61                                         // 000000002B30: BE9E003D
	s_mov_b32 s14, 0x140                                       // 000000002B34: BE8E00FF 00000140
	s_mov_b32 s38, -16                                         // 000000002B3C: BEA600D0
	s_mov_b32 s10, -16                                         // 000000002B40: BE8A00D0
	s_mov_b32 s34, 0x400                                       // 000000002B44: BEA200FF 00000400
	s_mov_b32 s23, 0x20000                                     // 000000002B4C: BE9700FF 00020000
	s_mov_b32 s27, 0x20000                                     // 000000002B54: BE9B00FF 00020000
	s_mov_b32 s31, 0x20000                                     // 000000002B5C: BE9F00FF 00020000
	s_mov_b32 s35, 0x20000                                     // 000000002B64: BEA300FF 00020000
	s_mov_b32 s15, 0x20000                                     // 000000002B6C: BE8F00FF 00020000
	s_mov_b32 s39, 0x20000                                     // 000000002B74: BEA700FF 00020000
	s_mov_b32 s11, 0x20000                                     // 000000002B7C: BE8B00FF 00020000
	s_and_b32 s21, s21, 0xffff                                 // 000000002B84: 8615FF15 0000FFFF
	s_and_b32 s25, s25, 0xffff                                 // 000000002B8C: 8619FF19 0000FFFF
	s_and_b32 s29, s29, 0xffff                                 // 000000002B94: 861DFF1D 0000FFFF
	s_and_b32 s33, s33, 0xffff                                 // 000000002B9C: 8621FF21 0000FFFF
	s_and_b32 s13, s13, 0xffff                                 // 000000002BA4: 860DFF0D 0000FFFF
	s_and_b32 s37, s37, 0xffff                                 // 000000002BAC: 8625FF25 0000FFFF
	s_or_b32 s21, s21, 0x40000                                 // 000000002BB4: 8715FF15 00040000
	s_or_b32 s25, s25, 0x40000                                 // 000000002BBC: 8719FF19 00040000
	s_or_b32 s29, s29, 0x40000                                 // 000000002BC4: 871DFF1D 00040000
	s_or_b32 s33, s33, 0x40000                                 // 000000002BCC: 8721FF21 00040000
	s_or_b32 s13, s13, 0x40000                                 // 000000002BD4: 870DFF0D 00040000
	s_or_b32 s37, s37, 0x40000                                 // 000000002BDC: 8725FF25 00040000
	s_mov_b32 s42, -16                                         // 000000002BE4: BEAA00D0
	s_mov_b32 s43, 0x20000                                     // 000000002BE8: BEAB00FF 00020000
	s_and_b32 s41, s41, 0xffff                                 // 000000002BF0: 8629FF29 0000FFFF
	s_or_b32 s41, s41, 0x40000                                 // 000000002BF8: 8729FF29 00040000
	v_accvgpr_write_b32 a143, 0                                // 000000002C00: D3D9408F 18000080
	v_mov_b32_e32 v228, 0                                      // 000000002C08: 7FC80280
	s_waitcnt lgkmcnt(0)                                       // 000000002C0C: BF8CC07F
	s_mul_i32 s60, s3, 0x50                                    // 000000002C10: 923CFF03 00000050
	s_cmp_lt_i32 s60, s48                                      // 000000002C18: BF04303C
	s_cbranch_scc0 label_2F94                                  // 000000002C1C: BF842F09
	s_mov_b32 s80, 0                                           // 000000002C20: BED00080
	s_lshr_b32 s81, s64, s88                                   // 000000002C24: 8F515840
	s_mul_i32 s60, s3, 4                                       // 000000002C28: 923C8403
	s_add_u32 s44, s60, s44                                    // 000000002C2C: 802C2C3C
	s_addc_u32 s45, 0, s45                                     // 000000002C30: 822D2D80
	s_load_dword s5, s[44:45], 0x0                             // 000000002C34: C0020156 00000000
	s_mul_i32 s60, s3, 0x50                                    // 000000002C3C: 923CFF03 00000050
	s_mul_i32 s60, 4, s60                                      // 000000002C44: 923C3C84
	s_add_u32 s12, s60, s12                                    // 000000002C48: 800C0C3C
	s_addc_u32 s13, 0, s13                                     // 000000002C4C: 820D0D80
	v_and_b32_e32 v4, 15, v0                                   // 000000002C50: 2608008F
	v_lshlrev_b32_e32 v4, 2, v4                                // 000000002C54: 24080882
	buffer_load_dword v28, v4, s[12:15], 0 offen               // 000000002C58: E0501000 80031C04
	v_add_u32_e32 v4, 64, v4                                   // 000000002C60: 680808C0
	buffer_load_dword v29, v4, s[12:15], 0 offen               // 000000002C64: E0501000 80031D04
	v_add_u32_e32 v4, 64, v4                                   // 000000002C6C: 680808C0
	buffer_load_dword v30, v4, s[12:15], 0 offen               // 000000002C70: E0501000 80031E04
	v_add_u32_e32 v4, 64, v4                                   // 000000002C78: 680808C0
	buffer_load_dword v31, v4, s[12:15], 0 offen               // 000000002C7C: E0501000 80031F04
	v_add_u32_e32 v4, 64, v4                                   // 000000002C84: 680808C0
	buffer_load_dword v32, v4, s[12:15], 0 offen               // 000000002C88: E0501000 80032004
	v_add_u32_e32 v4, 64, v4                                   // 000000002C90: 680808C0
	s_mul_i32 s60, 4, s7                                       // 000000002C94: 923C0784
	v_lshlrev_b32_e32 v4, 4, v0                                // 000000002C98: 24080084
	v_add_u32_e32 v4, s60, v4                                  // 000000002C9C: 6808083C
	buffer_load_dword v3, v4, s[12:15], 0 offen                // 000000002CA0: E0501000 80030304
	v_mov_b32_e32 v64, 0                                       // 000000002CA8: 7E800280
	v_mov_b32_e32 v144, 0                                      // 000000002CAC: 7F200280
	v_mov_b32_e32 v65, 0                                       // 000000002CB0: 7E820280
	v_mov_b32_e32 v145, 0                                      // 000000002CB4: 7F220280
	v_mov_b32_e32 v66, 0                                       // 000000002CB8: 7E840280
	v_mov_b32_e32 v146, 0                                      // 000000002CBC: 7F240280
	v_mov_b32_e32 v67, 0                                       // 000000002CC0: 7E860280
	v_mov_b32_e32 v147, 0                                      // 000000002CC4: 7F260280
	v_mov_b32_e32 v68, 0                                       // 000000002CC8: 7E880280
	v_mov_b32_e32 v148, 0                                      // 000000002CCC: 7F280280
	v_mov_b32_e32 v69, 0                                       // 000000002CD0: 7E8A0280
	v_mov_b32_e32 v149, 0                                      // 000000002CD4: 7F2A0280
	v_mov_b32_e32 v70, 0                                       // 000000002CD8: 7E8C0280
	v_mov_b32_e32 v150, 0                                      // 000000002CDC: 7F2C0280
	v_mov_b32_e32 v71, 0                                       // 000000002CE0: 7E8E0280
	v_mov_b32_e32 v151, 0                                      // 000000002CE4: 7F2E0280
	v_mov_b32_e32 v72, 0                                       // 000000002CE8: 7E900280
	v_mov_b32_e32 v152, 0                                      // 000000002CEC: 7F300280
	v_mov_b32_e32 v73, 0                                       // 000000002CF0: 7E920280
	v_mov_b32_e32 v153, 0                                      // 000000002CF4: 7F320280
	v_mov_b32_e32 v74, 0                                       // 000000002CF8: 7E940280
	v_mov_b32_e32 v154, 0                                      // 000000002CFC: 7F340280
	v_mov_b32_e32 v75, 0                                       // 000000002D00: 7E960280
	v_mov_b32_e32 v155, 0                                      // 000000002D04: 7F360280
	v_mov_b32_e32 v76, 0                                       // 000000002D08: 7E980280
	v_mov_b32_e32 v156, 0                                      // 000000002D0C: 7F380280
	v_mov_b32_e32 v77, 0                                       // 000000002D10: 7E9A0280
	v_mov_b32_e32 v157, 0                                      // 000000002D14: 7F3A0280
	v_mov_b32_e32 v78, 0                                       // 000000002D18: 7E9C0280
	v_mov_b32_e32 v158, 0                                      // 000000002D1C: 7F3C0280
	v_mov_b32_e32 v79, 0                                       // 000000002D20: 7E9E0280
	v_mov_b32_e32 v159, 0                                      // 000000002D24: 7F3E0280
	v_mov_b32_e32 v80, 0                                       // 000000002D28: 7EA00280
	v_mov_b32_e32 v160, 0                                      // 000000002D2C: 7F400280
	v_mov_b32_e32 v81, 0                                       // 000000002D30: 7EA20280
	v_mov_b32_e32 v161, 0                                      // 000000002D34: 7F420280
	v_mov_b32_e32 v82, 0                                       // 000000002D38: 7EA40280
	v_mov_b32_e32 v162, 0                                      // 000000002D3C: 7F440280
	v_mov_b32_e32 v83, 0                                       // 000000002D40: 7EA60280
	v_mov_b32_e32 v163, 0                                      // 000000002D44: 7F460280
	v_mov_b32_e32 v84, 0                                       // 000000002D48: 7EA80280
	v_mov_b32_e32 v164, 0                                      // 000000002D4C: 7F480280
	v_mov_b32_e32 v85, 0                                       // 000000002D50: 7EAA0280
	v_mov_b32_e32 v165, 0                                      // 000000002D54: 7F4A0280
	v_mov_b32_e32 v86, 0                                       // 000000002D58: 7EAC0280
	v_mov_b32_e32 v166, 0                                      // 000000002D5C: 7F4C0280
	v_mov_b32_e32 v87, 0                                       // 000000002D60: 7EAE0280
	v_mov_b32_e32 v167, 0                                      // 000000002D64: 7F4E0280
	v_mov_b32_e32 v88, 0                                       // 000000002D68: 7EB00280
	v_mov_b32_e32 v168, 0                                      // 000000002D6C: 7F500280
	v_mov_b32_e32 v89, 0                                       // 000000002D70: 7EB20280
	v_mov_b32_e32 v169, 0                                      // 000000002D74: 7F520280
	v_mov_b32_e32 v90, 0                                       // 000000002D78: 7EB40280
	v_mov_b32_e32 v170, 0                                      // 000000002D7C: 7F540280
	v_mov_b32_e32 v91, 0                                       // 000000002D80: 7EB60280
	v_mov_b32_e32 v171, 0                                      // 000000002D84: 7F560280
	v_mov_b32_e32 v92, 0                                       // 000000002D88: 7EB80280
	v_mov_b32_e32 v172, 0                                      // 000000002D8C: 7F580280
	v_mov_b32_e32 v93, 0                                       // 000000002D90: 7EBA0280
	v_mov_b32_e32 v173, 0                                      // 000000002D94: 7F5A0280
	v_mov_b32_e32 v94, 0                                       // 000000002D98: 7EBC0280
	v_mov_b32_e32 v174, 0                                      // 000000002D9C: 7F5C0280
	v_mov_b32_e32 v95, 0                                       // 000000002DA0: 7EBE0280
	v_mov_b32_e32 v175, 0                                      // 000000002DA4: 7F5E0280
	v_mov_b32_e32 v96, 0                                       // 000000002DA8: 7EC00280
	v_mov_b32_e32 v176, 0                                      // 000000002DAC: 7F600280
	v_mov_b32_e32 v97, 0                                       // 000000002DB0: 7EC20280
	v_mov_b32_e32 v177, 0                                      // 000000002DB4: 7F620280
	v_mov_b32_e32 v98, 0                                       // 000000002DB8: 7EC40280
	v_mov_b32_e32 v178, 0                                      // 000000002DBC: 7F640280
	v_mov_b32_e32 v99, 0                                       // 000000002DC0: 7EC60280
	v_mov_b32_e32 v179, 0                                      // 000000002DC4: 7F660280
	v_mov_b32_e32 v100, 0                                      // 000000002DC8: 7EC80280
	v_mov_b32_e32 v180, 0                                      // 000000002DCC: 7F680280
	v_mov_b32_e32 v101, 0                                      // 000000002DD0: 7ECA0280
	v_mov_b32_e32 v181, 0                                      // 000000002DD4: 7F6A0280
	v_mov_b32_e32 v102, 0                                      // 000000002DD8: 7ECC0280
	v_mov_b32_e32 v182, 0                                      // 000000002DDC: 7F6C0280
	v_mov_b32_e32 v103, 0                                      // 000000002DE0: 7ECE0280
	v_mov_b32_e32 v183, 0                                      // 000000002DE4: 7F6E0280
	v_mov_b32_e32 v104, 0                                      // 000000002DE8: 7ED00280
	v_mov_b32_e32 v184, 0                                      // 000000002DEC: 7F700280
	v_mov_b32_e32 v105, 0                                      // 000000002DF0: 7ED20280
	v_mov_b32_e32 v185, 0                                      // 000000002DF4: 7F720280
	v_mov_b32_e32 v106, 0                                      // 000000002DF8: 7ED40280
	v_mov_b32_e32 v186, 0                                      // 000000002DFC: 7F740280
	v_mov_b32_e32 v107, 0                                      // 000000002E00: 7ED60280
	v_mov_b32_e32 v187, 0                                      // 000000002E04: 7F760280
	v_mov_b32_e32 v108, 0                                      // 000000002E08: 7ED80280
	v_mov_b32_e32 v188, 0                                      // 000000002E0C: 7F780280
	v_mov_b32_e32 v109, 0                                      // 000000002E10: 7EDA0280
	v_mov_b32_e32 v189, 0                                      // 000000002E14: 7F7A0280
	v_mov_b32_e32 v110, 0                                      // 000000002E18: 7EDC0280
	v_mov_b32_e32 v190, 0                                      // 000000002E1C: 7F7C0280
	v_mov_b32_e32 v111, 0                                      // 000000002E20: 7EDE0280
	v_mov_b32_e32 v191, 0                                      // 000000002E24: 7F7E0280
	v_mov_b32_e32 v112, 0                                      // 000000002E28: 7EE00280
	v_mov_b32_e32 v192, 0                                      // 000000002E2C: 7F800280
	v_mov_b32_e32 v113, 0                                      // 000000002E30: 7EE20280
	v_mov_b32_e32 v193, 0                                      // 000000002E34: 7F820280
	v_mov_b32_e32 v114, 0                                      // 000000002E38: 7EE40280
	v_mov_b32_e32 v194, 0                                      // 000000002E3C: 7F840280
	v_mov_b32_e32 v115, 0                                      // 000000002E40: 7EE60280
	v_mov_b32_e32 v195, 0                                      // 000000002E44: 7F860280
	v_mov_b32_e32 v116, 0                                      // 000000002E48: 7EE80280
	v_mov_b32_e32 v196, 0                                      // 000000002E4C: 7F880280
	v_mov_b32_e32 v117, 0                                      // 000000002E50: 7EEA0280
	v_mov_b32_e32 v197, 0                                      // 000000002E54: 7F8A0280
	v_mov_b32_e32 v118, 0                                      // 000000002E58: 7EEC0280
	v_mov_b32_e32 v198, 0                                      // 000000002E5C: 7F8C0280
	v_mov_b32_e32 v119, 0                                      // 000000002E60: 7EEE0280
	v_mov_b32_e32 v199, 0                                      // 000000002E64: 7F8E0280
	v_mov_b32_e32 v120, 0                                      // 000000002E68: 7EF00280
	v_mov_b32_e32 v200, 0                                      // 000000002E6C: 7F900280
	v_mov_b32_e32 v121, 0                                      // 000000002E70: 7EF20280
	v_mov_b32_e32 v201, 0                                      // 000000002E74: 7F920280
	v_mov_b32_e32 v122, 0                                      // 000000002E78: 7EF40280
	v_mov_b32_e32 v202, 0                                      // 000000002E7C: 7F940280
	v_mov_b32_e32 v123, 0                                      // 000000002E80: 7EF60280
	v_mov_b32_e32 v203, 0                                      // 000000002E84: 7F960280
	v_mov_b32_e32 v124, 0                                      // 000000002E88: 7EF80280
	v_mov_b32_e32 v204, 0                                      // 000000002E8C: 7F980280
	v_mov_b32_e32 v125, 0                                      // 000000002E90: 7EFA0280
	v_mov_b32_e32 v205, 0                                      // 000000002E94: 7F9A0280
	v_mov_b32_e32 v126, 0                                      // 000000002E98: 7EFC0280
	v_mov_b32_e32 v206, 0                                      // 000000002E9C: 7F9C0280
	v_mov_b32_e32 v127, 0                                      // 000000002EA0: 7EFE0280
	v_mov_b32_e32 v207, 0                                      // 000000002EA4: 7F9E0280
	v_mov_b32_e32 v128, 0                                      // 000000002EA8: 7F000280
	v_mov_b32_e32 v208, 0                                      // 000000002EAC: 7FA00280
	v_mov_b32_e32 v129, 0                                      // 000000002EB0: 7F020280
	v_mov_b32_e32 v209, 0                                      // 000000002EB4: 7FA20280
	v_mov_b32_e32 v130, 0                                      // 000000002EB8: 7F040280
	v_mov_b32_e32 v210, 0                                      // 000000002EBC: 7FA40280
	v_mov_b32_e32 v131, 0                                      // 000000002EC0: 7F060280
	v_mov_b32_e32 v211, 0                                      // 000000002EC4: 7FA60280
	v_mov_b32_e32 v132, 0                                      // 000000002EC8: 7F080280
	v_mov_b32_e32 v212, 0                                      // 000000002ECC: 7FA80280
	v_mov_b32_e32 v133, 0                                      // 000000002ED0: 7F0A0280
	v_mov_b32_e32 v213, 0                                      // 000000002ED4: 7FAA0280
	v_mov_b32_e32 v134, 0                                      // 000000002ED8: 7F0C0280
	v_mov_b32_e32 v214, 0                                      // 000000002EDC: 7FAC0280
	v_mov_b32_e32 v135, 0                                      // 000000002EE0: 7F0E0280
	v_mov_b32_e32 v215, 0                                      // 000000002EE4: 7FAE0280
	v_mov_b32_e32 v136, 0                                      // 000000002EE8: 7F100280
	v_mov_b32_e32 v216, 0                                      // 000000002EEC: 7FB00280
	v_mov_b32_e32 v137, 0                                      // 000000002EF0: 7F120280
	v_mov_b32_e32 v217, 0                                      // 000000002EF4: 7FB20280
	v_mov_b32_e32 v138, 0                                      // 000000002EF8: 7F140280
	v_mov_b32_e32 v218, 0                                      // 000000002EFC: 7FB40280
	v_mov_b32_e32 v139, 0                                      // 000000002F00: 7F160280
	v_mov_b32_e32 v219, 0                                      // 000000002F04: 7FB60280
	v_mov_b32_e32 v140, 0                                      // 000000002F08: 7F180280
	v_mov_b32_e32 v220, 0                                      // 000000002F0C: 7FB80280
	v_mov_b32_e32 v141, 0                                      // 000000002F10: 7F1A0280
	v_mov_b32_e32 v221, 0                                      // 000000002F14: 7FBA0280
	v_mov_b32_e32 v142, 0                                      // 000000002F18: 7F1C0280
	v_mov_b32_e32 v222, 0                                      // 000000002F1C: 7FBC0280
	v_mov_b32_e32 v143, 0                                      // 000000002F20: 7F1E0280
	v_mov_b32_e32 v223, 0                                      // 000000002F24: 7FBE0280
	s_mul_i32 s60, s2, 0x200                                   // 000000002F28: 923CFF02 00000200
	s_cmp_eq_u32 s88, 0                                        // 000000002F30: BF068058
	s_cselect_b32 s61, 1, 2                                    // 000000002F34: 853D8281
	s_mul_i32 s60, s60, s61                                    // 000000002F38: 923C3D3C
	s_mov_b32 s90, s8                                          // 000000002F3C: BEDA0008
	s_mov_b32 s91, s9                                          // 000000002F40: BEDB0009
	s_add_u32 s8, s60, s8                                      // 000000002F44: 8008083C
	s_addc_u32 s9, 0, s9                                       // 000000002F48: 82090980
	v_lshrrev_b32_e32 v4, 4, v0                                // 000000002F4C: 20080084
	v_mul_lo_u32 v20, 34, v4                                   // 000000002F50: D2850014 000208A2
	v_and_b32_e32 v4, 15, v0                                   // 000000002F58: 2608008F
	v_mul_lo_u32 v5, 2, v4                                     // 000000002F5C: D2850005 00020882
	v_add_u32_e32 v20, v5, v20                                 // 000000002F64: 68282905
	s_mul_i32 s60, s7, 0x88                                    // 000000002F68: 923CFF07 00000088
	v_add_u32_e32 v20, s60, v20                                // 000000002F70: 6828283C
	v_lshlrev_b32_e32 v20, 2, v20                              // 000000002F74: 24282882
	v_and_b32_e32 v4, 31, v0                                   // 000000002F78: 2608009F
	v_lshrrev_b32_e32 v4, 1, v4                                // 000000002F7C: 20080881
	v_mul_lo_u32 v21, 34, v4                                   // 000000002F80: D2850015 000208A2
	v_lshrrev_b32_e32 v4, 5, v0                                // 000000002F88: 20080085
	v_mul_lo_u32 v4, 8, v4                                     // 000000002F8C: D2850004 00020888
	v_add_u32_e32 v21, v21, v4                                 // 000000002F94: 682A0915
	v_and_b32_e32 v5, 1, v0                                    // 000000002F98: 260A0081
	v_add_u32_e32 v21, v5, v21                                 // 000000002F9C: 682A2B05
	s_mul_i32 s60, s7, 2                                       // 000000002FA0: 923C8207
	v_add_u32_e32 v21, s60, v21                                // 000000002FA4: 682A2A3C
	v_lshlrev_b32_e32 v21, 2, v21                              // 000000002FA8: 242A2A82
	s_mul_i32 s60, s7, 0xa20                                   // 000000002FAC: 923CFF07 00000A20
	s_add_u32 s48, 0, s60                                      // 000000002FB4: 80303C80
	s_add_u32 s49, 0x2880, s48                                 // 000000002FB8: 803130FF 00002880
	v_lshrrev_b32_e32 v4, 4, v0                                // 000000002FC0: 20080084
	v_lshlrev_b32_e32 v5, 2, v4                                // 000000002FC4: 240A0882
	v_and_b32_e32 v4, 15, v0                                   // 000000002FC8: 2608008F
	v_lshrrev_b32_e32 v6, 2, v4                                // 000000002FCC: 200C0882
	v_lshlrev_b32_e32 v6, 5, v6                                // 000000002FD0: 240C0C85
	v_add_u32_e32 v5, v6, v5                                   // 000000002FD4: 680A0B06
	v_and_b32_e32 v4, 3, v0                                    // 000000002FD8: 26080083
	v_mul_u32_u24_e32 v6, 0x288, v4                            // 000000002FDC: 100C08FF 00000288
	v_add_u32_e32 v5, v6, v5                                   // 000000002FE4: 680A0B06
	v_lshlrev_b32_e32 v2, 2, v5                                // 000000002FE8: 24040A82
	s_waitcnt lgkmcnt(0)                                       // 000000002FEC: BF8CC07F
	s_mul_i32 s60, s2, 0x100                                   // 000000002FF0: 923CFF02 00000100
	s_mul_i32 s60, s60, s69                                    // 000000002FF8: 923C453C
	s_mul_i32 s61, s5, s72                                     // 000000002FFC: 923D4805
	s_add_u32 s60, s61, s60                                    // 000000003000: 803C3C3D
	s_add_u32 s24, s60, s24                                    // 000000003004: 8018183C
	s_addc_u32 s25, 0, s25                                     // 000000003008: 82191980
	s_lshr_b32 s60, s64, s88                                   // 00000000300C: 8F3C5840
	s_mul_i32 s60, s4, s60                                     // 000000003010: 923C3C04
	s_lshr_b32 s60, s60, 7                                     // 000000003014: 8F3C873C
	s_mul_i32 s60, s60, 0x800                                  // 000000003018: 923CFF3C 00000800
	s_add_u32 s24, s60, s24                                    // 000000003020: 8018183C
	s_addc_u32 s25, 0, s25                                     // 000000003024: 82191980
	s_lshr_b32 s60, s69, s88                                   // 000000003028: 8F3C5845
	s_mul_i32 s60, s4, s60                                     // 00000000302C: 923C3C04
	s_add_u32 s20, s60, s20                                    // 000000003030: 8014143C
	s_addc_u32 s21, 0, s21                                     // 000000003034: 82151580
	s_mul_i32 s60, s7, 16                                      // 000000003038: 923C9007
	s_mul_i32 s60, s60, s69                                    // 00000000303C: 923C453C
	v_lshlrev_b32_e32 v58, 4, v0                               // 000000003040: 24740084
	v_add_u32_e32 v58, s60, v58                                // 000000003044: 6874743C
	s_mul_i32 s60, 64, s69                                     // 000000003048: 923C45C0
	v_add_u32_e32 v59, s60, v58                                // 00000000304C: 6876743C
	v_add_u32_e32 v60, s60, v59                                // 000000003050: 6878763C
	v_add_u32_e32 v61, s60, v60                                // 000000003054: 687A783C
	s_mov_b32 s84, s24                                         // 000000003058: BED40018
	s_mov_b32 s85, s25                                         // 00000000305C: BED50019
	s_mov_b32 s86, s26                                         // 000000003060: BED6001A
	s_mov_b32 s87, s27                                         // 000000003064: BED7001B
	s_mul_i32 s60, s69, s65                                    // 000000003068: 923C4145
	s_add_u32 s84, s60, s84                                    // 00000000306C: 8054543C
	s_addc_u32 s85, 0, s85                                     // 000000003070: 82555580
	v_lshrrev_b32_e32 v4, 4, v0                                // 000000003074: 20080084
	v_lshlrev_b32_e32 v5, 2, v4                                // 000000003078: 240A0882
	v_and_b32_e32 v4, 15, v0                                   // 00000000307C: 2608008F
	v_lshrrev_b32_e32 v6, 2, v4                                // 000000003080: 200C0882
	v_lshlrev_b32_e32 v6, 6, v6                                // 000000003084: 240C0C86
	v_add_u32_e32 v5, v6, v5                                   // 000000003088: 680A0B06
	v_and_b32_e32 v4, 3, v0                                    // 00000000308C: 26080083
	v_add_u32_e32 v5, v4, v5                                   // 000000003090: 680A0B04
	v_lshlrev_b32_e32 v22, 2, v5                               // 000000003094: 242C0A82
	s_mul_i32 s60, s7, 16                                      // 000000003098: 923C9007
	s_mul_i32 s60, s60, 4                                      // 00000000309C: 923C843C
	v_add_u32_e32 v22, s60, v22                                // 0000000030A0: 682C2C3C
	s_mul_i32 s60, s2, 0x100                                   // 0000000030A4: 923CFF02 00000100
	s_mul_i32 s60, s60, 4                                      // 0000000030AC: 923C843C
	s_mul_i32 s61, s5, s74                                     // 0000000030B0: 923D4A05
	s_add_u32 s61, s61, s60                                    // 0000000030B4: 803D3C3D
	s_add_u32 s32, s61, s32                                    // 0000000030B8: 8020203D
	s_addc_u32 s33, 0, s33                                     // 0000000030BC: 82212180
	s_mov_b32 s57, 0x80                                        // 0000000030C0: BEB900FF 00000080
	s_mov_b32 s58, 0x800                                       // 0000000030C8: BEBA00FF 00000800
	s_mov_b32 s83, s58                                         // 0000000030D0: BED3003A
	s_mov_b32 s52, 0x7060302                                   // 0000000030D4: BEB400FF 07060302
	s_mov_b32 s53, 0x400                                       // 0000000030DC: BEB500FF 00000400
	s_mov_b32 s54, 0x40100                                     // 0000000030E4: BEB600FF 00040100
	s_mov_b32 s55, 0x4020100                                   // 0000000030EC: BEB700FF 04020100
	s_mov_b32 s6, 0x3fb8aa3b                                   // 0000000030F4: BE8600FF 3FB8AA3B
	s_mov_b32 s78, 0xbd92220c                                  // 0000000030FC: BECE00FF BD92220C
	s_mov_b32 s79, 0xbd92220c                                  // 000000003104: BECF00FF BD92220C
	s_mov_b32 m0, s48                                          // 00000000310C: BEFC0030
	v_mov_b32_e32 v1, 0xbfcc4231                               // 000000003110: 7E0202FF BFCC4231
	v_mov_b32_e32 v17, 0xffff0000                              // 000000003118: 7E2202FF FFFF0000
	v_mov_b32_e32 v18, 0x7fff0000                              // 000000003120: 7E2402FF 7FFF0000
	v_mov_b32_e32 v19, 0x7fff                                  // 000000003128: 7E2602FF 00007FFF
	s_waitcnt vmcnt(0) expcnt(0) lgkmcnt(0)                    // 000000003130: BF8C0000
	s_mul_i32 s60, s3, 0x50                                    // 000000003134: 923CFF03 00000050
	s_mul_i32 s60, 4, s60                                      // 00000000313C: 923C3C84
	s_add_u32 s40, s60, s40                                    // 000000003140: 8028283C
	s_addc_u32 s41, 0, s41                                     // 000000003144: 82292980
	v_and_b32_e32 v4, 15, v0                                   // 000000003148: 2608008F
	v_lshlrev_b32_e32 v4, 2, v4                                // 00000000314C: 24080882
	buffer_load_dword v224, v4, s[40:43], 0 offen              // 000000003150: E0501000 800AE004
	buffer_load_dword v225, v4, s[40:43], 0 offen offset:64    // 000000003158: E0501040 800AE104
	buffer_load_dword v226, v4, s[40:43], 0 offen offset:128   // 000000003160: E0501080 800AE204
	buffer_load_dword v227, v4, s[40:43], 0 offen offset:192   // 000000003168: E05010C0 800AE304
	buffer_load_dword v228, v4, s[40:43], 0 offen offset:256   // 000000003170: E0501100 800AE404
	v_lshrrev_b32_e32 v4, 5, v0                                // 000000003178: 20080085
	v_xor_b32_e32 v5, 1, v4                                    // 00000000317C: 2A0A0881
	v_readlane_b32 s82, v3, 0                                  // 000000003180: D2890052 00010103
	s_and_b32 s82, s82, 0xffffff                               // 000000003188: 8652FF52 00FFFFFF
	v_mul_lo_u32 v6, v5, s82                                   // 000000003190: D2850006 0000A505
	v_readlane_b32 s82, v3, 1                                  // 000000003198: D2890052 00010303
	s_and_b32 s82, s82, 0xffffff                               // 0000000031A0: 8652FF52 00FFFFFF
	v_mul_lo_u32 v7, v4, s82                                   // 0000000031A8: D2850007 0000A504
	v_add_u32_e32 v48, v6, v7                                  // 0000000031B0: 68600F06
	v_mul_lo_u32 v48, v48, s68                                 // 0000000031B4: D2850030 00008930
	v_readlane_b32 s82, v3, 2                                  // 0000000031BC: D2890052 00010503
	s_and_b32 s82, s82, 0xffffff                               // 0000000031C4: 8652FF52 00FFFFFF
	v_mul_lo_u32 v6, v5, s82                                   // 0000000031CC: D2850006 0000A505
	v_readlane_b32 s82, v3, 3                                  // 0000000031D4: D2890052 00010703
	s_and_b32 s82, s82, 0xffffff                               // 0000000031DC: 8652FF52 00FFFFFF
	v_mul_lo_u32 v7, v4, s82                                   // 0000000031E4: D2850007 0000A504
	v_add_u32_e32 v49, v6, v7                                  // 0000000031EC: 68620F06
	v_mul_lo_u32 v49, v49, s68                                 // 0000000031F0: D2850031 00008931
	v_readlane_b32 s82, v3, 4                                  // 0000000031F8: D2890052 00010903
	s_and_b32 s82, s82, 0xffffff                               // 000000003200: 8652FF52 00FFFFFF
	v_mul_lo_u32 v6, v5, s82                                   // 000000003208: D2850006 0000A505
	v_readlane_b32 s82, v3, 5                                  // 000000003210: D2890052 00010B03
	s_and_b32 s82, s82, 0xffffff                               // 000000003218: 8652FF52 00FFFFFF
	v_mul_lo_u32 v7, v4, s82                                   // 000000003220: D2850007 0000A504
	v_add_u32_e32 v50, v6, v7                                  // 000000003228: 68640F06
	v_mul_lo_u32 v50, v50, s68                                 // 00000000322C: D2850032 00008932
	v_readlane_b32 s82, v3, 6                                  // 000000003234: D2890052 00010D03
	s_and_b32 s82, s82, 0xffffff                               // 00000000323C: 8652FF52 00FFFFFF
	v_mul_lo_u32 v6, v5, s82                                   // 000000003244: D2850006 0000A505
	v_readlane_b32 s82, v3, 7                                  // 00000000324C: D2890052 00010F03
	s_and_b32 s82, s82, 0xffffff                               // 000000003254: 8652FF52 00FFFFFF
	v_mul_lo_u32 v7, v4, s82                                   // 00000000325C: D2850007 0000A504
	v_add_u32_e32 v51, v6, v7                                  // 000000003264: 68660F06
	v_mul_lo_u32 v51, v51, s68                                 // 000000003268: D2850033 00008933
	v_readlane_b32 s82, v3, 8                                  // 000000003270: D2890052 00011103
	s_and_b32 s82, s82, 0xffffff                               // 000000003278: 8652FF52 00FFFFFF
	v_mul_lo_u32 v6, v5, s82                                   // 000000003280: D2850006 0000A505
	v_readlane_b32 s82, v3, 9                                  // 000000003288: D2890052 00011303
	s_and_b32 s82, s82, 0xffffff                               // 000000003290: 8652FF52 00FFFFFF
	v_mul_lo_u32 v7, v4, s82                                   // 000000003298: D2850007 0000A504
	v_add_u32_e32 v52, v6, v7                                  // 0000000032A0: 68680F06
	v_mul_lo_u32 v52, v52, s68                                 // 0000000032A4: D2850034 00008934
	v_readlane_b32 s82, v3, 10                                 // 0000000032AC: D2890052 00011503
	s_and_b32 s82, s82, 0xffffff                               // 0000000032B4: 8652FF52 00FFFFFF
	v_mul_lo_u32 v6, v5, s82                                   // 0000000032BC: D2850006 0000A505
	v_readlane_b32 s82, v3, 11                                 // 0000000032C4: D2890052 00011703
	s_and_b32 s82, s82, 0xffffff                               // 0000000032CC: 8652FF52 00FFFFFF
	v_mul_lo_u32 v7, v4, s82                                   // 0000000032D4: D2850007 0000A504
	v_add_u32_e32 v53, v6, v7                                  // 0000000032DC: 686A0F06
	v_mul_lo_u32 v53, v53, s68                                 // 0000000032E0: D2850035 00008935
	v_readlane_b32 s82, v3, 12                                 // 0000000032E8: D2890052 00011903
	s_and_b32 s82, s82, 0xffffff                               // 0000000032F0: 8652FF52 00FFFFFF
	v_mul_lo_u32 v6, v5, s82                                   // 0000000032F8: D2850006 0000A505
	v_readlane_b32 s82, v3, 13                                 // 000000003300: D2890052 00011B03
	s_and_b32 s82, s82, 0xffffff                               // 000000003308: 8652FF52 00FFFFFF
	v_mul_lo_u32 v7, v4, s82                                   // 000000003310: D2850007 0000A504
	v_add_u32_e32 v54, v6, v7                                  // 000000003318: 686C0F06
	v_mul_lo_u32 v54, v54, s68                                 // 00000000331C: D2850036 00008936
	v_readlane_b32 s82, v3, 14                                 // 000000003324: D2890052 00011D03
	s_and_b32 s82, s82, 0xffffff                               // 00000000332C: 8652FF52 00FFFFFF
	v_mul_lo_u32 v6, v5, s82                                   // 000000003334: D2850006 0000A505
	v_readlane_b32 s82, v3, 15                                 // 00000000333C: D2890052 00011F03
	s_and_b32 s82, s82, 0xffffff                               // 000000003344: 8652FF52 00FFFFFF
	v_mul_lo_u32 v7, v4, s82                                   // 00000000334C: D2850007 0000A504
	v_add_u32_e32 v55, v6, v7                                  // 000000003354: 686E0F06
	v_mul_lo_u32 v55, v55, s68                                 // 000000003358: D2850037 00008937
	v_readlane_b32 s82, v3, 16                                 // 000000003360: D2890052 00012103
	s_and_b32 s82, s82, 0xffffff                               // 000000003368: 8652FF52 00FFFFFF
	v_mul_lo_u32 v6, v5, s82                                   // 000000003370: D2850006 0000A505
	v_readlane_b32 s82, v3, 17                                 // 000000003378: D2890052 00012303
	s_and_b32 s82, s82, 0xffffff                               // 000000003380: 8652FF52 00FFFFFF
	v_mul_lo_u32 v7, v4, s82                                   // 000000003388: D2850007 0000A504
	v_add_u32_e32 v56, v6, v7                                  // 000000003390: 68700F06
	v_mul_lo_u32 v56, v56, s68                                 // 000000003394: D2850038 00008938
	v_readlane_b32 s82, v3, 18                                 // 00000000339C: D2890052 00012503
	s_and_b32 s82, s82, 0xffffff                               // 0000000033A4: 8652FF52 00FFFFFF
	v_mul_lo_u32 v6, v5, s82                                   // 0000000033AC: D2850006 0000A505
	v_readlane_b32 s82, v3, 19                                 // 0000000033B4: D2890052 00012703
	s_and_b32 s82, s82, 0xffffff                               // 0000000033BC: 8652FF52 00FFFFFF
	v_mul_lo_u32 v7, v4, s82                                   // 0000000033C4: D2850007 0000A504
	v_add_u32_e32 v57, v6, v7                                  // 0000000033CC: 68720F06
	v_mul_lo_u32 v57, v57, s68                                 // 0000000033D0: D2850039 00008939
	v_and_b32_e32 v4, 31, v0                                   // 0000000033D8: 2608009F
	v_lshlrev_b32_e32 v4, 2, v4                                // 0000000033DC: 24080882
	v_add_u32_e32 v48, v48, v4                                 // 0000000033E0: 68600930
	v_add_u32_e32 v49, v49, v4                                 // 0000000033E4: 68620931
	v_add_u32_e32 v50, v50, v4                                 // 0000000033E8: 68640932
	v_add_u32_e32 v51, v51, v4                                 // 0000000033EC: 68660933
	v_add_u32_e32 v52, v52, v4                                 // 0000000033F0: 68680934
	v_add_u32_e32 v53, v53, v4                                 // 0000000033F4: 686A0935
	v_add_u32_e32 v54, v54, v4                                 // 0000000033F8: 686C0936
	v_add_u32_e32 v55, v55, v4                                 // 0000000033FC: 686E0937
	v_add_u32_e32 v56, v56, v4                                 // 000000003400: 68700938
	v_add_u32_e32 v57, v57, v4                                 // 000000003404: 68720939
	v_and_b32_e32 v28, 0xffffff, v28                           // 000000003408: 263838FF 00FFFFFF
	v_lshlrev_b32_e32 v28, 2, v28                              // 000000003410: 24383882
	v_and_b32_e32 v29, 0xffffff, v29                           // 000000003414: 263A3AFF 00FFFFFF
	v_lshlrev_b32_e32 v29, 2, v29                              // 00000000341C: 243A3A82
	v_and_b32_e32 v30, 0xffffff, v30                           // 000000003420: 263C3CFF 00FFFFFF
	v_lshlrev_b32_e32 v30, 2, v30                              // 000000003428: 243C3C82
	v_and_b32_e32 v31, 0xffffff, v31                           // 00000000342C: 263E3EFF 00FFFFFF
	v_lshlrev_b32_e32 v31, 2, v31                              // 000000003434: 243E3E82
	v_and_b32_e32 v32, 0xffffff, v32                           // 000000003438: 264040FF 00FFFFFF
	v_lshlrev_b32_e32 v32, 2, v32                              // 000000003440: 24404082
	s_lshl_b32 s3, s66, 2                                      // 000000003444: 8E038242
	buffer_load_dword v33, v28, s[28:31], 0 offen              // 000000003448: E0501000 8007211C
	buffer_load_dword v34, v29, s[28:31], 0 offen              // 000000003450: E0501000 8007221D
	buffer_load_dword v35, v30, s[28:31], 0 offen              // 000000003458: E0501000 8007231E
	buffer_load_dword v36, v31, s[28:31], 0 offen              // 000000003460: E0501000 8007241F
	buffer_load_dword v37, v32, s[28:31], 0 offen              // 000000003468: E0501000 80072520
	buffer_load_dword v24, v22, s[32:35], 0 offen              // 000000003470: E0501000 80081816
	s_mul_i32 s60, 4, s65                                      // 000000003478: 923C4184
	s_add_u32 s32, s60, s32                                    // 00000000347C: 8020203C
	s_addc_u32 s33, 0, s33                                     // 000000003480: 82212180
	buffer_load_dword v26, v22, s[32:35], 0 offen              // 000000003484: E0501000 80081A16
	buffer_load_dword v48, s[20:23], 0 offen lds               // 00000000348C: E0511000 80050030
	s_add_u32 m0, 0x100, s48                                   // 000000003494: 807C30FF 00000100
	buffer_load_dword v49, s[20:23], 0 offen lds               // 00000000349C: E0511000 80050031
	s_add_u32 m0, 0x200, s48                                   // 0000000034A4: 807C30FF 00000200
	buffer_load_dword v50, s[20:23], 0 offen lds               // 0000000034AC: E0511000 80050032
	s_add_u32 m0, 0x300, s48                                   // 0000000034B4: 807C30FF 00000300
	buffer_load_dword v51, s[20:23], 0 offen lds               // 0000000034BC: E0511000 80050033
	s_add_u32 m0, 0x400, s48                                   // 0000000034C4: 807C30FF 00000400
	buffer_load_dword v52, s[20:23], 0 offen lds               // 0000000034CC: E0511000 80050034
	s_add_u32 m0, 0x500, s48                                   // 0000000034D4: 807C30FF 00000500
	buffer_load_dword v53, s[20:23], 0 offen lds               // 0000000034DC: E0511000 80050035
	s_add_u32 m0, 0x600, s48                                   // 0000000034E4: 807C30FF 00000600
	buffer_load_dword v54, s[20:23], 0 offen lds               // 0000000034EC: E0511000 80050036
	s_add_u32 m0, 0x700, s48                                   // 0000000034F4: 807C30FF 00000700
	buffer_load_dword v55, s[20:23], 0 offen lds               // 0000000034FC: E0511000 80050037
	s_add_u32 m0, 0x800, s48                                   // 000000003504: 807C30FF 00000800
	buffer_load_dword v56, s[20:23], 0 offen lds               // 00000000350C: E0511000 80050038
	s_add_u32 m0, 0x900, s48                                   // 000000003514: 807C30FF 00000900
	buffer_load_dword v57, s[20:23], 0 offen lds               // 00000000351C: E0511000 80050039
	s_add_u32 m0, 0, s49                                       // 000000003524: 807C3180
	s_add_u32 s20, s57, s20                                    // 000000003528: 80141439
	s_addc_u32 s21, 0, s21                                     // 00000000352C: 82151580
	buffer_load_dword v48, s[20:23], 0 offen lds               // 000000003530: E0511000 80050030
	s_add_u32 m0, 0x100, s49                                   // 000000003538: 807C31FF 00000100
	buffer_load_dword v49, s[20:23], 0 offen lds               // 000000003540: E0511000 80050031
	s_add_u32 m0, 0x200, s49                                   // 000000003548: 807C31FF 00000200
	;; [unrolled: 2-line block ×7, first 2 shown]
	buffer_load_dword v55, s[20:23], 0 offen lds               // 0000000035A0: E0511000 80050037
	s_add_u32 m0, 0x800, s49                                   // 0000000035A8: 807C31FF 00000800
	buffer_load_dword v56, s[20:23], 0 offen lds               // 0000000035B0: E0511000 80050038
	s_add_u32 m0, 0x900, s49                                   // 0000000035B8: 807C31FF 00000900
	buffer_load_dword v57, s[20:23], 0 offen lds               // 0000000035C0: E0511000 80050039
	s_add_u32 m0, 0, s48                                       // 0000000035C8: 807C3080
	s_add_u32 s20, s57, s20                                    // 0000000035CC: 80141439
	s_addc_u32 s21, 0, s21                                     // 0000000035D0: 82151580
	buffer_load_dwordx4 a[80:83], v58, s[24:27], 0 offen       // 0000000035D4: E05C1000 8086503A
	buffer_load_dwordx4 a[84:87], v58, s[24:27], 0 offen offset:1024// 0000000035DC: E05C1400 8086543A
	buffer_load_dwordx4 a[88:91], v59, s[24:27], 0 offen       // 0000000035E4: E05C1000 8086583B
	buffer_load_dwordx4 a[92:95], v59, s[24:27], 0 offen offset:1024// 0000000035EC: E05C1400 80865C3B
	buffer_load_dwordx4 a[96:99], v60, s[24:27], 0 offen       // 0000000035F4: E05C1000 8086603C
	buffer_load_dwordx4 a[100:103], v60, s[24:27], 0 offen offset:1024// 0000000035FC: E05C1400 8086643C
	buffer_load_dwordx4 a[104:107], v61, s[24:27], 0 offen     // 000000003604: E05C1000 8086683D
	buffer_load_dwordx4 a[108:111], v61, s[24:27], 0 offen offset:1024// 00000000360C: E05C1400 80866C3D
	s_add_u32 s24, s58, s24                                    // 000000003614: 8018183A
	s_addc_u32 s25, 0, s25                                     // 000000003618: 82191980
	s_waitcnt vmcnt(18)                                        // 00000000361C: BF8C4F72
	s_barrier                                                  // 000000003620: BF8A0000
	ds_read_b128 a[0:3], v2                                    // 000000003624: DBFE0000 00000002
	ds_read_b128 a[4:7], v2 offset:64                          // 00000000362C: DBFE0040 04000002
	ds_read_b128 a[8:11], v2 offset:512                        // 000000003634: DBFE0200 08000002
	ds_read_b128 a[12:15], v2 offset:576                       // 00000000363C: DBFE0240 0C000002
	ds_read_b128 a[16:19], v2 offset:1024                      // 000000003644: DBFE0400 10000002
	ds_read_b128 a[20:23], v2 offset:1088                      // 00000000364C: DBFE0440 14000002
	ds_read_b128 a[24:27], v2 offset:1536                      // 000000003654: DBFE0600 18000002
	ds_read_b128 a[28:31], v2 offset:1600                      // 00000000365C: DBFE0640 1C000002
	ds_read_b128 a[32:35], v2 offset:2048                      // 000000003664: DBFE0800 20000002
	ds_read_b128 a[36:39], v2 offset:2112                      // 00000000366C: DBFE0840 24000002
	s_cmp_lt_i32 s7, 2                                         // 000000003674: BF048207
	s_cbranch_scc0 label_195B                                  // 000000003678: BF841639

000000000000367c <label_031F>:
	s_waitcnt vmcnt(6) lgkmcnt(0)                              // 00000000367C: BF8C0076
	s_barrier                                                  // 000000003680: BF8A0000
	v_mfma_f32_16x16x32_fp8_fp8 v[64:67], a[80:81], a[0:1], v[64:67]// 000000003684: D3F30040 1D020150
	v_mfma_f32_16x16x32_fp8_fp8 v[64:67], a[82:83], a[2:3], v[64:67]// 00000000368C: D3F30040 1D020552
	buffer_load_dwordx4 a[112:115], v58, s[84:87], 0 offen     // 000000003694: E05C1000 8095703A
	v_mfma_f32_16x16x32_fp8_fp8 v[64:67], a[84:85], a[4:5], v[64:67]// 00000000369C: D3F30040 1D020954
	v_mfma_f32_16x16x32_fp8_fp8 v[64:67], a[86:87], a[6:7], v[64:67]// 0000000036A4: D3F30040 1D020D56
	v_mfma_f32_16x16x32_fp8_fp8 v[68:71], a[80:81], a[8:9], v[68:71]// 0000000036AC: D3F30044 1D121150
	v_mfma_f32_16x16x32_fp8_fp8 v[68:71], a[82:83], a[10:11], v[68:71]// 0000000036B4: D3F30044 1D121552
	buffer_load_dwordx4 a[116:119], v58, s[84:87], 0 offen offset:1024// 0000000036BC: E05C1400 8095743A
	v_mfma_f32_16x16x32_fp8_fp8 v[68:71], a[84:85], a[12:13], v[68:71]// 0000000036C4: D3F30044 1D121954
	v_mfma_f32_16x16x32_fp8_fp8 v[68:71], a[86:87], a[14:15], v[68:71]// 0000000036CC: D3F30044 1D121D56
	v_mfma_f32_16x16x32_fp8_fp8 v[72:75], a[80:81], a[16:17], v[72:75]// 0000000036D4: D3F30048 1D222150
	v_mfma_f32_16x16x32_fp8_fp8 v[72:75], a[82:83], a[18:19], v[72:75]// 0000000036DC: D3F30048 1D222552
	buffer_load_dwordx4 a[120:123], v59, s[84:87], 0 offen     // 0000000036E4: E05C1000 8095783B
	v_mfma_f32_16x16x32_fp8_fp8 v[72:75], a[84:85], a[20:21], v[72:75]// 0000000036EC: D3F30048 1D222954
	v_mfma_f32_16x16x32_fp8_fp8 v[72:75], a[86:87], a[22:23], v[72:75]// 0000000036F4: D3F30048 1D222D56
	v_mfma_f32_16x16x32_fp8_fp8 v[76:79], a[80:81], a[24:25], v[76:79]// 0000000036FC: D3F3004C 1D323150
	v_mfma_f32_16x16x32_fp8_fp8 v[76:79], a[82:83], a[26:27], v[76:79]// 000000003704: D3F3004C 1D323552
	buffer_load_dwordx4 a[124:127], v59, s[84:87], 0 offen offset:1024// 00000000370C: E05C1400 80957C3B
	v_mfma_f32_16x16x32_fp8_fp8 v[76:79], a[84:85], a[28:29], v[76:79]// 000000003714: D3F3004C 1D323954
	v_mfma_f32_16x16x32_fp8_fp8 v[76:79], a[86:87], a[30:31], v[76:79]// 00000000371C: D3F3004C 1D323D56
	v_mfma_f32_16x16x32_fp8_fp8 v[80:83], a[80:81], a[32:33], v[80:83]// 000000003724: D3F30050 1D424150
	v_mfma_f32_16x16x32_fp8_fp8 v[80:83], a[82:83], a[34:35], v[80:83]// 00000000372C: D3F30050 1D424552
	buffer_load_dwordx4 a[128:131], v60, s[84:87], 0 offen     // 000000003734: E05C1000 8095803C
	v_mfma_f32_16x16x32_fp8_fp8 v[80:83], a[84:85], a[36:37], v[80:83]// 00000000373C: D3F30050 1D424954
	v_mfma_f32_16x16x32_fp8_fp8 v[80:83], a[86:87], a[38:39], v[80:83]// 000000003744: D3F30050 1D424D56
	s_waitcnt vmcnt(9)                                         // 00000000374C: BF8C0F79
	v_mfma_f32_16x16x32_fp8_fp8 v[84:87], a[88:89], a[0:1], v[84:87]// 000000003750: D3F30054 1D520158
	v_mfma_f32_16x16x32_fp8_fp8 v[84:87], a[90:91], a[2:3], v[84:87]// 000000003758: D3F30054 1D52055A
	buffer_load_dwordx4 a[132:135], v60, s[84:87], 0 offen offset:1024// 000000003760: E05C1400 8095843C
	v_mfma_f32_16x16x32_fp8_fp8 v[84:87], a[92:93], a[4:5], v[84:87]// 000000003768: D3F30054 1D52095C
	v_mfma_f32_16x16x32_fp8_fp8 v[84:87], a[94:95], a[6:7], v[84:87]// 000000003770: D3F30054 1D520D5E
	v_mfma_f32_16x16x32_fp8_fp8 v[88:91], a[88:89], a[8:9], v[88:91]// 000000003778: D3F30058 1D621158
	v_mfma_f32_16x16x32_fp8_fp8 v[88:91], a[90:91], a[10:11], v[88:91]// 000000003780: D3F30058 1D62155A
	buffer_load_dwordx4 a[136:139], v61, s[84:87], 0 offen     // 000000003788: E05C1000 8095883D
	v_mfma_f32_16x16x32_fp8_fp8 v[88:91], a[92:93], a[12:13], v[88:91]// 000000003790: D3F30058 1D62195C
	v_mfma_f32_16x16x32_fp8_fp8 v[88:91], a[94:95], a[14:15], v[88:91]// 000000003798: D3F30058 1D621D5E
	v_mfma_f32_16x16x32_fp8_fp8 v[92:95], a[88:89], a[16:17], v[92:95]// 0000000037A0: D3F3005C 1D722158
	v_mfma_f32_16x16x32_fp8_fp8 v[92:95], a[90:91], a[18:19], v[92:95]// 0000000037A8: D3F3005C 1D72255A
	buffer_load_dwordx4 a[140:143], v61, s[84:87], 0 offen offset:1024// 0000000037B0: E05C1400 80958C3D
	buffer_load_dword v48, s[20:23], 0 offen lds               // 0000000037B8: E0511000 80050030
	s_add_u32 m0, 0x100, s48                                   // 0000000037C0: 807C30FF 00000100
	v_mfma_f32_16x16x32_fp8_fp8 v[92:95], a[92:93], a[20:21], v[92:95]// 0000000037C8: D3F3005C 1D72295C
	v_mfma_f32_16x16x32_fp8_fp8 v[92:95], a[94:95], a[22:23], v[92:95]// 0000000037D0: D3F3005C 1D722D5E
	buffer_load_dword v49, s[20:23], 0 offen lds               // 0000000037D8: E0511000 80050031
	s_add_u32 m0, 0x200, s48                                   // 0000000037E0: 807C30FF 00000200
	v_mfma_f32_16x16x32_fp8_fp8 v[96:99], a[88:89], a[24:25], v[96:99]// 0000000037E8: D3F30060 1D823158
	v_mfma_f32_16x16x32_fp8_fp8 v[96:99], a[90:91], a[26:27], v[96:99]// 0000000037F0: D3F30060 1D82355A
	buffer_load_dword v50, s[20:23], 0 offen lds               // 0000000037F8: E0511000 80050032
	s_add_u32 m0, 0x300, s48                                   // 000000003800: 807C30FF 00000300
	v_mfma_f32_16x16x32_fp8_fp8 v[96:99], a[92:93], a[28:29], v[96:99]// 000000003808: D3F30060 1D82395C
	v_mfma_f32_16x16x32_fp8_fp8 v[96:99], a[94:95], a[30:31], v[96:99]// 000000003810: D3F30060 1D823D5E
	buffer_load_dword v51, s[20:23], 0 offen lds               // 000000003818: E0511000 80050033
	s_add_u32 m0, 0x400, s48                                   // 000000003820: 807C30FF 00000400
	v_mfma_f32_16x16x32_fp8_fp8 v[100:103], a[88:89], a[32:33], v[100:103]// 000000003828: D3F30064 1D924158
	v_mfma_f32_16x16x32_fp8_fp8 v[100:103], a[90:91], a[34:35], v[100:103]// 000000003830: D3F30064 1D92455A
	buffer_load_dword v52, s[20:23], 0 offen lds               // 000000003838: E0511000 80050034
	s_add_u32 m0, 0x500, s48                                   // 000000003840: 807C30FF 00000500
	v_mfma_f32_16x16x32_fp8_fp8 v[100:103], a[92:93], a[36:37], v[100:103]// 000000003848: D3F30064 1D92495C
	v_mfma_f32_16x16x32_fp8_fp8 v[100:103], a[94:95], a[38:39], v[100:103]// 000000003850: D3F30064 1D924D5E
	buffer_load_dword v53, s[20:23], 0 offen lds               // 000000003858: E0511000 80050035
	s_add_u32 m0, 0x600, s48                                   // 000000003860: 807C30FF 00000600
	s_waitcnt vmcnt(16)                                        // 000000003868: BF8C4F70
	v_mfma_f32_16x16x32_fp8_fp8 v[104:107], a[96:97], a[0:1], v[104:107]// 00000000386C: D3F30068 1DA20160
	v_mfma_f32_16x16x32_fp8_fp8 v[104:107], a[98:99], a[2:3], v[104:107]// 000000003874: D3F30068 1DA20562
	buffer_load_dword v54, s[20:23], 0 offen lds               // 00000000387C: E0511000 80050036
	s_add_u32 m0, 0x700, s48                                   // 000000003884: 807C30FF 00000700
	v_mfma_f32_16x16x32_fp8_fp8 v[104:107], a[100:101], a[4:5], v[104:107]// 00000000388C: D3F30068 1DA20964
	v_mfma_f32_16x16x32_fp8_fp8 v[104:107], a[102:103], a[6:7], v[104:107]// 000000003894: D3F30068 1DA20D66
	buffer_load_dword v55, s[20:23], 0 offen lds               // 00000000389C: E0511000 80050037
	s_add_u32 m0, 0x800, s48                                   // 0000000038A4: 807C30FF 00000800
	v_mfma_f32_16x16x32_fp8_fp8 v[108:111], a[96:97], a[8:9], v[108:111]// 0000000038AC: D3F3006C 1DB21160
	v_mfma_f32_16x16x32_fp8_fp8 v[108:111], a[98:99], a[10:11], v[108:111]// 0000000038B4: D3F3006C 1DB21562
	buffer_load_dword v56, s[20:23], 0 offen lds               // 0000000038BC: E0511000 80050038
	s_add_u32 m0, 0x900, s48                                   // 0000000038C4: 807C30FF 00000900
	v_mfma_f32_16x16x32_fp8_fp8 v[108:111], a[100:101], a[12:13], v[108:111]// 0000000038CC: D3F3006C 1DB21964
	v_mfma_f32_16x16x32_fp8_fp8 v[108:111], a[102:103], a[14:15], v[108:111]// 0000000038D4: D3F3006C 1DB21D66
	buffer_load_dword v57, s[20:23], 0 offen lds               // 0000000038DC: E0511000 80050039
	s_add_u32 m0, 0, s49                                       // 0000000038E4: 807C3180
	v_mfma_f32_16x16x32_fp8_fp8 v[112:115], a[96:97], a[16:17], v[112:115]// 0000000038E8: D3F30070 1DC22160
	v_mfma_f32_16x16x32_fp8_fp8 v[112:115], a[98:99], a[18:19], v[112:115]// 0000000038F0: D3F30070 1DC22562
	v_mfma_f32_16x16x32_fp8_fp8 v[112:115], a[100:101], a[20:21], v[112:115]// 0000000038F8: D3F30070 1DC22964
	v_mfma_f32_16x16x32_fp8_fp8 v[112:115], a[102:103], a[22:23], v[112:115]// 000000003900: D3F30070 1DC22D66
	v_mfma_f32_16x16x32_fp8_fp8 v[116:119], a[96:97], a[24:25], v[116:119]// 000000003908: D3F30074 1DD23160
	v_mfma_f32_16x16x32_fp8_fp8 v[116:119], a[98:99], a[26:27], v[116:119]// 000000003910: D3F30074 1DD23562
	v_mfma_f32_16x16x32_fp8_fp8 v[116:119], a[100:101], a[28:29], v[116:119]// 000000003918: D3F30074 1DD23964
	v_mfma_f32_16x16x32_fp8_fp8 v[116:119], a[102:103], a[30:31], v[116:119]// 000000003920: D3F30074 1DD23D66
	v_mfma_f32_16x16x32_fp8_fp8 v[120:123], a[96:97], a[32:33], v[120:123]// 000000003928: D3F30078 1DE24160
	v_mfma_f32_16x16x32_fp8_fp8 v[120:123], a[98:99], a[34:35], v[120:123]// 000000003930: D3F30078 1DE24562
	v_mfma_f32_16x16x32_fp8_fp8 v[120:123], a[100:101], a[36:37], v[120:123]// 000000003938: D3F30078 1DE24964
	v_mfma_f32_16x16x32_fp8_fp8 v[120:123], a[102:103], a[38:39], v[120:123]// 000000003940: D3F30078 1DE24D66
	s_waitcnt vmcnt(18)                                        // 000000003948: BF8C4F72
	v_mfma_f32_16x16x32_fp8_fp8 v[124:127], a[104:105], a[0:1], v[124:127]// 00000000394C: D3F3007C 1DF20168
	v_mfma_f32_16x16x32_fp8_fp8 v[124:127], a[106:107], a[2:3], v[124:127]// 000000003954: D3F3007C 1DF2056A
	v_mfma_f32_16x16x32_fp8_fp8 v[124:127], a[108:109], a[4:5], v[124:127]// 00000000395C: D3F3007C 1DF2096C
	v_mfma_f32_16x16x32_fp8_fp8 v[124:127], a[110:111], a[6:7], v[124:127]// 000000003964: D3F3007C 1DF20D6E
	v_mfma_f32_16x16x32_fp8_fp8 v[128:131], a[104:105], a[8:9], v[128:131]// 00000000396C: D3F30080 1E021168
	v_mfma_f32_16x16x32_fp8_fp8 v[128:131], a[106:107], a[10:11], v[128:131]// 000000003974: D3F30080 1E02156A
	v_mfma_f32_16x16x32_fp8_fp8 v[128:131], a[108:109], a[12:13], v[128:131]// 00000000397C: D3F30080 1E02196C
	v_mfma_f32_16x16x32_fp8_fp8 v[128:131], a[110:111], a[14:15], v[128:131]// 000000003984: D3F30080 1E021D6E
	v_mfma_f32_16x16x32_fp8_fp8 v[132:135], a[104:105], a[16:17], v[132:135]// 00000000398C: D3F30084 1E122168
	v_mfma_f32_16x16x32_fp8_fp8 v[132:135], a[106:107], a[18:19], v[132:135]// 000000003994: D3F30084 1E12256A
	v_mfma_f32_16x16x32_fp8_fp8 v[132:135], a[108:109], a[20:21], v[132:135]// 00000000399C: D3F30084 1E12296C
	v_mfma_f32_16x16x32_fp8_fp8 v[132:135], a[110:111], a[22:23], v[132:135]// 0000000039A4: D3F30084 1E122D6E
	v_mfma_f32_16x16x32_fp8_fp8 v[136:139], a[104:105], a[24:25], v[136:139]// 0000000039AC: D3F30088 1E223168
	v_mfma_f32_16x16x32_fp8_fp8 v[136:139], a[106:107], a[26:27], v[136:139]// 0000000039B4: D3F30088 1E22356A
	v_mfma_f32_16x16x32_fp8_fp8 v[136:139], a[108:109], a[28:29], v[136:139]// 0000000039BC: D3F30088 1E22396C
	v_mfma_f32_16x16x32_fp8_fp8 v[136:139], a[110:111], a[30:31], v[136:139]// 0000000039C4: D3F30088 1E223D6E
	v_mfma_f32_16x16x32_fp8_fp8 v[140:143], a[104:105], a[32:33], v[140:143]// 0000000039CC: D3F3008C 1E324168
	v_mfma_f32_16x16x32_fp8_fp8 v[140:143], a[106:107], a[34:35], v[140:143]// 0000000039D4: D3F3008C 1E32456A
	s_add_u32 s60, 0x80, s80                                   // 0000000039DC: 803C50FF 00000080
	s_cmp_lt_u32 s60, s81                                      // 0000000039E4: BF0A513C
	s_cselect_b32 s83, s83, 0                                  // 0000000039E8: 85538053
	v_mfma_f32_16x16x32_fp8_fp8 v[140:143], a[108:109], a[36:37], v[140:143]// 0000000039EC: D3F3008C 1E32496C
	v_mfma_f32_16x16x32_fp8_fp8 v[140:143], a[110:111], a[38:39], v[140:143]// 0000000039F4: D3F3008C 1E324D6E
	s_waitcnt vmcnt(10)                                        // 0000000039FC: BF8C0F7A
	v_mfma_f32_16x16x32_fp8_fp8 v[144:147], a[112:113], a[0:1], v[144:147]// 000000003A00: D3F30090 1E420170
	v_mfma_f32_16x16x32_fp8_fp8 v[144:147], a[114:115], a[2:3], v[144:147]// 000000003A08: D3F30090 1E420572
	buffer_load_dwordx4 a[80:83], v58, s[24:27], 0 offen       // 000000003A10: E05C1000 8086503A
	v_mfma_f32_16x16x32_fp8_fp8 v[144:147], a[116:117], a[4:5], v[144:147]// 000000003A18: D3F30090 1E420974
	v_mfma_f32_16x16x32_fp8_fp8 v[144:147], a[118:119], a[6:7], v[144:147]// 000000003A20: D3F30090 1E420D76
	ds_read_b128 a[40:43], v2 offset:10368                     // 000000003A28: DBFE2880 28000002
	ds_read_b128 a[44:47], v2 offset:10432                     // 000000003A30: DBFE28C0 2C000002
	v_mfma_f32_16x16x32_fp8_fp8 v[164:167], a[120:121], a[0:1], v[164:167]// 000000003A38: D3F300A4 1E920178
	v_mfma_f32_16x16x32_fp8_fp8 v[164:167], a[122:123], a[2:3], v[164:167]// 000000003A40: D3F300A4 1E92057A
	buffer_load_dwordx4 a[84:87], v58, s[24:27], 0 offen offset:1024// 000000003A48: E05C1400 8086543A
	v_mfma_f32_16x16x32_fp8_fp8 v[164:167], a[124:125], a[4:5], v[164:167]// 000000003A50: D3F300A4 1E92097C
	v_mfma_f32_16x16x32_fp8_fp8 v[164:167], a[126:127], a[6:7], v[164:167]// 000000003A58: D3F300A4 1E920D7E
	ds_read_b128 a[48:51], v2 offset:10880                     // 000000003A60: DBFE2A80 30000002
	ds_read_b128 a[52:55], v2 offset:10944                     // 000000003A68: DBFE2AC0 34000002
	v_mfma_f32_16x16x32_fp8_fp8 v[184:187], a[128:129], a[0:1], v[184:187]// 000000003A70: D3F300B8 1EE20180
	v_mfma_f32_16x16x32_fp8_fp8 v[184:187], a[130:131], a[2:3], v[184:187]// 000000003A78: D3F300B8 1EE20582
	buffer_load_dwordx4 a[88:91], v59, s[24:27], 0 offen       // 000000003A80: E05C1000 8086583B
	v_mfma_f32_16x16x32_fp8_fp8 v[184:187], a[132:133], a[4:5], v[184:187]// 000000003A88: D3F300B8 1EE20984
	v_mfma_f32_16x16x32_fp8_fp8 v[184:187], a[134:135], a[6:7], v[184:187]// 000000003A90: D3F300B8 1EE20D86
	ds_read_b128 a[56:59], v2 offset:11392                     // 000000003A98: DBFE2C80 38000002
	ds_read_b128 a[60:63], v2 offset:11456                     // 000000003AA0: DBFE2CC0 3C000002
	v_mfma_f32_16x16x32_fp8_fp8 v[204:207], a[136:137], a[0:1], v[204:207]// 000000003AA8: D3F300CC 1F320188
	v_mfma_f32_16x16x32_fp8_fp8 v[204:207], a[138:139], a[2:3], v[204:207]// 000000003AB0: D3F300CC 1F32058A
	buffer_load_dwordx4 a[92:95], v59, s[24:27], 0 offen offset:1024// 000000003AB8: E05C1400 80865C3B
	v_mfma_f32_16x16x32_fp8_fp8 v[204:207], a[140:141], a[4:5], v[204:207]// 000000003AC0: D3F300CC 1F32098C
	v_mfma_f32_16x16x32_fp8_fp8 v[204:207], a[142:143], a[6:7], v[204:207]// 000000003AC8: D3F300CC 1F320D8E
	ds_read_b128 a[64:67], v2 offset:11904                     // 000000003AD0: DBFE2E80 40000002
	ds_read_b128 a[68:71], v2 offset:11968                     // 000000003AD8: DBFE2EC0 44000002
	v_mfma_f32_16x16x32_fp8_fp8 v[148:151], a[112:113], a[8:9], v[148:151]// 000000003AE0: D3F30094 1E521170
	v_mfma_f32_16x16x32_fp8_fp8 v[148:151], a[114:115], a[10:11], v[148:151]// 000000003AE8: D3F30094 1E521572
	buffer_load_dwordx4 a[96:99], v60, s[24:27], 0 offen       // 000000003AF0: E05C1000 8086603C
	v_mfma_f32_16x16x32_fp8_fp8 v[148:151], a[116:117], a[12:13], v[148:151]// 000000003AF8: D3F30094 1E521974
	v_mfma_f32_16x16x32_fp8_fp8 v[148:151], a[118:119], a[14:15], v[148:151]// 000000003B00: D3F30094 1E521D76
	ds_read_b128 a[72:75], v2 offset:12416                     // 000000003B08: DBFE3080 48000002
	ds_read_b128 a[76:79], v2 offset:12480                     // 000000003B10: DBFE30C0 4C000002
	v_mfma_f32_16x16x32_fp8_fp8 v[168:171], a[120:121], a[8:9], v[168:171]// 000000003B18: D3F300A8 1EA21178
	v_mfma_f32_16x16x32_fp8_fp8 v[168:171], a[122:123], a[10:11], v[168:171]// 000000003B20: D3F300A8 1EA2157A
	buffer_load_dwordx4 a[100:103], v60, s[24:27], 0 offen offset:1024// 000000003B28: E05C1400 8086643C
	v_mfma_f32_16x16x32_fp8_fp8 v[168:171], a[124:125], a[12:13], v[168:171]// 000000003B30: D3F300A8 1EA2197C
	v_mfma_f32_16x16x32_fp8_fp8 v[168:171], a[126:127], a[14:15], v[168:171]// 000000003B38: D3F300A8 1EA21D7E
	v_mfma_f32_16x16x32_fp8_fp8 v[188:191], a[128:129], a[8:9], v[188:191]// 000000003B40: D3F300BC 1EF21180
	v_mfma_f32_16x16x32_fp8_fp8 v[188:191], a[130:131], a[10:11], v[188:191]// 000000003B48: D3F300BC 1EF21582
	buffer_load_dwordx4 a[104:107], v61, s[24:27], 0 offen     // 000000003B50: E05C1000 8086683D
	v_mfma_f32_16x16x32_fp8_fp8 v[188:191], a[132:133], a[12:13], v[188:191]// 000000003B58: D3F300BC 1EF21984
	v_mfma_f32_16x16x32_fp8_fp8 v[188:191], a[134:135], a[14:15], v[188:191]// 000000003B60: D3F300BC 1EF21D86
	v_mfma_f32_16x16x32_fp8_fp8 v[208:211], a[136:137], a[8:9], v[208:211]// 000000003B68: D3F300D0 1F421188
	v_mfma_f32_16x16x32_fp8_fp8 v[208:211], a[138:139], a[10:11], v[208:211]// 000000003B70: D3F300D0 1F42158A
	buffer_load_dwordx4 a[108:111], v61, s[24:27], 0 offen offset:1024// 000000003B78: E05C1400 80866C3D
	v_mfma_f32_16x16x32_fp8_fp8 v[208:211], a[140:141], a[12:13], v[208:211]// 000000003B80: D3F300D0 1F42198C
	v_mfma_f32_16x16x32_fp8_fp8 v[208:211], a[142:143], a[14:15], v[208:211]// 000000003B88: D3F300D0 1F421D8E
	v_mfma_f32_16x16x32_fp8_fp8 v[152:155], a[112:113], a[16:17], v[152:155]// 000000003B90: D3F30098 1E622170
	v_mfma_f32_16x16x32_fp8_fp8 v[152:155], a[114:115], a[18:19], v[152:155]// 000000003B98: D3F30098 1E622572
	v_mfma_f32_16x16x32_fp8_fp8 v[152:155], a[116:117], a[20:21], v[152:155]// 000000003BA0: D3F30098 1E622974
	v_mfma_f32_16x16x32_fp8_fp8 v[152:155], a[118:119], a[22:23], v[152:155]// 000000003BA8: D3F30098 1E622D76
	v_mfma_f32_16x16x32_fp8_fp8 v[172:175], a[120:121], a[16:17], v[172:175]// 000000003BB0: D3F300AC 1EB22178
	v_mfma_f32_16x16x32_fp8_fp8 v[172:175], a[122:123], a[18:19], v[172:175]// 000000003BB8: D3F300AC 1EB2257A
	v_mfma_f32_16x16x32_fp8_fp8 v[172:175], a[124:125], a[20:21], v[172:175]// 000000003BC0: D3F300AC 1EB2297C
	v_mfma_f32_16x16x32_fp8_fp8 v[172:175], a[126:127], a[22:23], v[172:175]// 000000003BC8: D3F300AC 1EB22D7E
	v_mfma_f32_16x16x32_fp8_fp8 v[192:195], a[128:129], a[16:17], v[192:195]// 000000003BD0: D3F300C0 1F022180
	v_mfma_f32_16x16x32_fp8_fp8 v[192:195], a[130:131], a[18:19], v[192:195]// 000000003BD8: D3F300C0 1F022582
	v_mfma_f32_16x16x32_fp8_fp8 v[192:195], a[132:133], a[20:21], v[192:195]// 000000003BE0: D3F300C0 1F022984
	v_mfma_f32_16x16x32_fp8_fp8 v[192:195], a[134:135], a[22:23], v[192:195]// 000000003BE8: D3F300C0 1F022D86
	v_mfma_f32_16x16x32_fp8_fp8 v[212:215], a[136:137], a[16:17], v[212:215]// 000000003BF0: D3F300D4 1F522188
	v_mfma_f32_16x16x32_fp8_fp8 v[212:215], a[138:139], a[18:19], v[212:215]// 000000003BF8: D3F300D4 1F52258A
	v_mfma_f32_16x16x32_fp8_fp8 v[212:215], a[140:141], a[20:21], v[212:215]// 000000003C00: D3F300D4 1F52298C
	v_mfma_f32_16x16x32_fp8_fp8 v[212:215], a[142:143], a[22:23], v[212:215]// 000000003C08: D3F300D4 1F522D8E
	v_mfma_f32_16x16x32_fp8_fp8 v[156:159], a[112:113], a[24:25], v[156:159]// 000000003C10: D3F3009C 1E723170
	v_mfma_f32_16x16x32_fp8_fp8 v[156:159], a[114:115], a[26:27], v[156:159]// 000000003C18: D3F3009C 1E723572
	v_mfma_f32_16x16x32_fp8_fp8 v[156:159], a[116:117], a[28:29], v[156:159]// 000000003C20: D3F3009C 1E723974
	v_mfma_f32_16x16x32_fp8_fp8 v[156:159], a[118:119], a[30:31], v[156:159]// 000000003C28: D3F3009C 1E723D76
	v_mfma_f32_16x16x32_fp8_fp8 v[176:179], a[120:121], a[24:25], v[176:179]// 000000003C30: D3F300B0 1EC23178
	v_mfma_f32_16x16x32_fp8_fp8 v[176:179], a[122:123], a[26:27], v[176:179]// 000000003C38: D3F300B0 1EC2357A
	v_mfma_f32_16x16x32_fp8_fp8 v[176:179], a[124:125], a[28:29], v[176:179]// 000000003C40: D3F300B0 1EC2397C
	v_mfma_f32_16x16x32_fp8_fp8 v[176:179], a[126:127], a[30:31], v[176:179]// 000000003C48: D3F300B0 1EC23D7E
	v_mfma_f32_16x16x32_fp8_fp8 v[196:199], a[128:129], a[24:25], v[196:199]// 000000003C50: D3F300C4 1F123180
	v_mfma_f32_16x16x32_fp8_fp8 v[196:199], a[130:131], a[26:27], v[196:199]// 000000003C58: D3F300C4 1F123582
	v_mfma_f32_16x16x32_fp8_fp8 v[196:199], a[132:133], a[28:29], v[196:199]// 000000003C60: D3F300C4 1F123984
	v_mfma_f32_16x16x32_fp8_fp8 v[196:199], a[134:135], a[30:31], v[196:199]// 000000003C68: D3F300C4 1F123D86
	v_mfma_f32_16x16x32_fp8_fp8 v[216:219], a[136:137], a[24:25], v[216:219]// 000000003C70: D3F300D8 1F623188
	v_mfma_f32_16x16x32_fp8_fp8 v[216:219], a[138:139], a[26:27], v[216:219]// 000000003C78: D3F300D8 1F62358A
	v_mfma_f32_16x16x32_fp8_fp8 v[216:219], a[140:141], a[28:29], v[216:219]// 000000003C80: D3F300D8 1F62398C
	v_mfma_f32_16x16x32_fp8_fp8 v[216:219], a[142:143], a[30:31], v[216:219]// 000000003C88: D3F300D8 1F623D8E
	v_mfma_f32_16x16x32_fp8_fp8 v[160:163], a[112:113], a[32:33], v[160:163]// 000000003C90: D3F300A0 1E824170
	v_mfma_f32_16x16x32_fp8_fp8 v[160:163], a[114:115], a[34:35], v[160:163]// 000000003C98: D3F300A0 1E824572
	v_mfma_f32_16x16x32_fp8_fp8 v[160:163], a[116:117], a[36:37], v[160:163]// 000000003CA0: D3F300A0 1E824974
	v_mfma_f32_16x16x32_fp8_fp8 v[160:163], a[118:119], a[38:39], v[160:163]// 000000003CA8: D3F300A0 1E824D76
	v_mfma_f32_16x16x32_fp8_fp8 v[180:183], a[120:121], a[32:33], v[180:183]// 000000003CB0: D3F300B4 1ED24178
	v_mfma_f32_16x16x32_fp8_fp8 v[180:183], a[122:123], a[34:35], v[180:183]// 000000003CB8: D3F300B4 1ED2457A
	v_mfma_f32_16x16x32_fp8_fp8 v[180:183], a[124:125], a[36:37], v[180:183]// 000000003CC0: D3F300B4 1ED2497C
	v_mfma_f32_16x16x32_fp8_fp8 v[180:183], a[126:127], a[38:39], v[180:183]// 000000003CC8: D3F300B4 1ED24D7E
	v_mfma_f32_16x16x32_fp8_fp8 v[200:203], a[128:129], a[32:33], v[200:203]// 000000003CD0: D3F300C8 1F224180
	v_mfma_f32_16x16x32_fp8_fp8 v[200:203], a[130:131], a[34:35], v[200:203]// 000000003CD8: D3F300C8 1F224582
	v_mfma_f32_16x16x32_fp8_fp8 v[200:203], a[132:133], a[36:37], v[200:203]// 000000003CE0: D3F300C8 1F224984
	s_add_u32 s60, 0x180, s80                                  // 000000003CE8: 803C50FF 00000180
	s_cmp_lt_u32 s60, s81                                      // 000000003CF0: BF0A513C
	s_cselect_b32 s57, s57, 0                                  // 000000003CF4: 85398039
	v_mfma_f32_16x16x32_fp8_fp8 v[200:203], a[134:135], a[38:39], v[200:203]// 000000003CF8: D3F300C8 1F224D86
	s_add_u32 s60, 0x100, s80                                  // 000000003D00: 803C50FF 00000100
	s_cmp_lt_u32 s60, s81                                      // 000000003D08: BF0A513C
	s_cselect_b32 s58, s58, 0                                  // 000000003D0C: 853A803A
	v_mfma_f32_16x16x32_fp8_fp8 v[220:223], a[136:137], a[32:33], v[220:223]// 000000003D10: D3F300DC 1F724188
	s_add_u32 s24, s58, s24                                    // 000000003D18: 8018183A
	s_addc_u32 s25, 0, s25                                     // 000000003D1C: 82191980
	v_mfma_f32_16x16x32_fp8_fp8 v[220:223], a[138:139], a[34:35], v[220:223]// 000000003D20: D3F300DC 1F72458A
	s_add_u32 s20, s57, s20                                    // 000000003D28: 80141439
	s_addc_u32 s21, 0, s21                                     // 000000003D2C: 82151580
	v_mfma_f32_16x16x32_fp8_fp8 v[220:223], a[140:141], a[36:37], v[220:223]// 000000003D30: D3F300DC 1F72498C
	s_add_u32 s84, s83, s84                                    // 000000003D38: 80545453
	s_addc_u32 s85, 0, s85                                     // 000000003D3C: 82555580
	v_mfma_f32_16x16x32_fp8_fp8 v[220:223], a[142:143], a[38:39], v[220:223]// 000000003D40: D3F300DC 1F724D8E
	s_addk_i32 s80, 0x80                                       // 000000003D48: B7500080
	s_cmp_lt_i32 s80, s81                                      // 000000003D4C: BF045150
	s_cbranch_scc0 label_068C                                  // 000000003D50: BF8401B7
	s_waitcnt vmcnt(6) lgkmcnt(0)                              // 000000003D54: BF8C0076
	s_barrier                                                  // 000000003D58: BF8A0000
	v_mfma_f32_16x16x32_fp8_fp8 v[64:67], a[80:81], a[40:41], v[64:67]// 000000003D5C: D3F30040 1D025150
	v_mfma_f32_16x16x32_fp8_fp8 v[64:67], a[82:83], a[42:43], v[64:67]// 000000003D64: D3F30040 1D025552
	buffer_load_dwordx4 a[112:115], v58, s[84:87], 0 offen     // 000000003D6C: E05C1000 8095703A
	v_mfma_f32_16x16x32_fp8_fp8 v[64:67], a[84:85], a[44:45], v[64:67]// 000000003D74: D3F30040 1D025954
	v_mfma_f32_16x16x32_fp8_fp8 v[64:67], a[86:87], a[46:47], v[64:67]// 000000003D7C: D3F30040 1D025D56
	v_mfma_f32_16x16x32_fp8_fp8 v[68:71], a[80:81], a[48:49], v[68:71]// 000000003D84: D3F30044 1D126150
	v_mfma_f32_16x16x32_fp8_fp8 v[68:71], a[82:83], a[50:51], v[68:71]// 000000003D8C: D3F30044 1D126552
	buffer_load_dwordx4 a[116:119], v58, s[84:87], 0 offen offset:1024// 000000003D94: E05C1400 8095743A
	v_mfma_f32_16x16x32_fp8_fp8 v[68:71], a[84:85], a[52:53], v[68:71]// 000000003D9C: D3F30044 1D126954
	v_mfma_f32_16x16x32_fp8_fp8 v[68:71], a[86:87], a[54:55], v[68:71]// 000000003DA4: D3F30044 1D126D56
	v_mfma_f32_16x16x32_fp8_fp8 v[72:75], a[80:81], a[56:57], v[72:75]// 000000003DAC: D3F30048 1D227150
	v_mfma_f32_16x16x32_fp8_fp8 v[72:75], a[82:83], a[58:59], v[72:75]// 000000003DB4: D3F30048 1D227552
	buffer_load_dwordx4 a[120:123], v59, s[84:87], 0 offen     // 000000003DBC: E05C1000 8095783B
	v_mfma_f32_16x16x32_fp8_fp8 v[72:75], a[84:85], a[60:61], v[72:75]// 000000003DC4: D3F30048 1D227954
	v_mfma_f32_16x16x32_fp8_fp8 v[72:75], a[86:87], a[62:63], v[72:75]// 000000003DCC: D3F30048 1D227D56
	v_mfma_f32_16x16x32_fp8_fp8 v[76:79], a[80:81], a[64:65], v[76:79]// 000000003DD4: D3F3004C 1D328150
	v_mfma_f32_16x16x32_fp8_fp8 v[76:79], a[82:83], a[66:67], v[76:79]// 000000003DDC: D3F3004C 1D328552
	buffer_load_dwordx4 a[124:127], v59, s[84:87], 0 offen offset:1024// 000000003DE4: E05C1400 80957C3B
	v_mfma_f32_16x16x32_fp8_fp8 v[76:79], a[84:85], a[68:69], v[76:79]// 000000003DEC: D3F3004C 1D328954
	v_mfma_f32_16x16x32_fp8_fp8 v[76:79], a[86:87], a[70:71], v[76:79]// 000000003DF4: D3F3004C 1D328D56
	v_mfma_f32_16x16x32_fp8_fp8 v[80:83], a[80:81], a[72:73], v[80:83]// 000000003DFC: D3F30050 1D429150
	v_mfma_f32_16x16x32_fp8_fp8 v[80:83], a[82:83], a[74:75], v[80:83]// 000000003E04: D3F30050 1D429552
	buffer_load_dwordx4 a[128:131], v60, s[84:87], 0 offen     // 000000003E0C: E05C1000 8095803C
	v_mfma_f32_16x16x32_fp8_fp8 v[80:83], a[84:85], a[76:77], v[80:83]// 000000003E14: D3F30050 1D429954
	v_mfma_f32_16x16x32_fp8_fp8 v[80:83], a[86:87], a[78:79], v[80:83]// 000000003E1C: D3F30050 1D429D56
	s_waitcnt vmcnt(9)                                         // 000000003E24: BF8C0F79
	v_mfma_f32_16x16x32_fp8_fp8 v[84:87], a[88:89], a[40:41], v[84:87]// 000000003E28: D3F30054 1D525158
	v_mfma_f32_16x16x32_fp8_fp8 v[84:87], a[90:91], a[42:43], v[84:87]// 000000003E30: D3F30054 1D52555A
	buffer_load_dwordx4 a[132:135], v60, s[84:87], 0 offen offset:1024// 000000003E38: E05C1400 8095843C
	v_mfma_f32_16x16x32_fp8_fp8 v[84:87], a[92:93], a[44:45], v[84:87]// 000000003E40: D3F30054 1D52595C
	v_mfma_f32_16x16x32_fp8_fp8 v[84:87], a[94:95], a[46:47], v[84:87]// 000000003E48: D3F30054 1D525D5E
	v_mfma_f32_16x16x32_fp8_fp8 v[88:91], a[88:89], a[48:49], v[88:91]// 000000003E50: D3F30058 1D626158
	v_mfma_f32_16x16x32_fp8_fp8 v[88:91], a[90:91], a[50:51], v[88:91]// 000000003E58: D3F30058 1D62655A
	buffer_load_dwordx4 a[136:139], v61, s[84:87], 0 offen     // 000000003E60: E05C1000 8095883D
	v_mfma_f32_16x16x32_fp8_fp8 v[88:91], a[92:93], a[52:53], v[88:91]// 000000003E68: D3F30058 1D62695C
	v_mfma_f32_16x16x32_fp8_fp8 v[88:91], a[94:95], a[54:55], v[88:91]// 000000003E70: D3F30058 1D626D5E
	v_mfma_f32_16x16x32_fp8_fp8 v[92:95], a[88:89], a[56:57], v[92:95]// 000000003E78: D3F3005C 1D727158
	v_mfma_f32_16x16x32_fp8_fp8 v[92:95], a[90:91], a[58:59], v[92:95]// 000000003E80: D3F3005C 1D72755A
	buffer_load_dwordx4 a[140:143], v61, s[84:87], 0 offen offset:1024// 000000003E88: E05C1400 80958C3D
	buffer_load_dword v48, s[20:23], 0 offen lds               // 000000003E90: E0511000 80050030
	s_add_u32 m0, 0x100, s49                                   // 000000003E98: 807C31FF 00000100
	v_mfma_f32_16x16x32_fp8_fp8 v[92:95], a[92:93], a[60:61], v[92:95]// 000000003EA0: D3F3005C 1D72795C
	v_mfma_f32_16x16x32_fp8_fp8 v[92:95], a[94:95], a[62:63], v[92:95]// 000000003EA8: D3F3005C 1D727D5E
	buffer_load_dword v49, s[20:23], 0 offen lds               // 000000003EB0: E0511000 80050031
	s_add_u32 m0, 0x200, s49                                   // 000000003EB8: 807C31FF 00000200
	v_mfma_f32_16x16x32_fp8_fp8 v[96:99], a[88:89], a[64:65], v[96:99]// 000000003EC0: D3F30060 1D828158
	v_mfma_f32_16x16x32_fp8_fp8 v[96:99], a[90:91], a[66:67], v[96:99]// 000000003EC8: D3F30060 1D82855A
	buffer_load_dword v50, s[20:23], 0 offen lds               // 000000003ED0: E0511000 80050032
	s_add_u32 m0, 0x300, s49                                   // 000000003ED8: 807C31FF 00000300
	v_mfma_f32_16x16x32_fp8_fp8 v[96:99], a[92:93], a[68:69], v[96:99]// 000000003EE0: D3F30060 1D82895C
	v_mfma_f32_16x16x32_fp8_fp8 v[96:99], a[94:95], a[70:71], v[96:99]// 000000003EE8: D3F30060 1D828D5E
	buffer_load_dword v51, s[20:23], 0 offen lds               // 000000003EF0: E0511000 80050033
	s_add_u32 m0, 0x400, s49                                   // 000000003EF8: 807C31FF 00000400
	v_mfma_f32_16x16x32_fp8_fp8 v[100:103], a[88:89], a[72:73], v[100:103]// 000000003F00: D3F30064 1D929158
	v_mfma_f32_16x16x32_fp8_fp8 v[100:103], a[90:91], a[74:75], v[100:103]// 000000003F08: D3F30064 1D92955A
	buffer_load_dword v52, s[20:23], 0 offen lds               // 000000003F10: E0511000 80050034
	s_add_u32 m0, 0x500, s49                                   // 000000003F18: 807C31FF 00000500
	v_mfma_f32_16x16x32_fp8_fp8 v[100:103], a[92:93], a[76:77], v[100:103]// 000000003F20: D3F30064 1D92995C
	v_mfma_f32_16x16x32_fp8_fp8 v[100:103], a[94:95], a[78:79], v[100:103]// 000000003F28: D3F30064 1D929D5E
	buffer_load_dword v53, s[20:23], 0 offen lds               // 000000003F30: E0511000 80050035
	s_add_u32 m0, 0x600, s49                                   // 000000003F38: 807C31FF 00000600
	s_waitcnt vmcnt(16)                                        // 000000003F40: BF8C4F70
	v_mfma_f32_16x16x32_fp8_fp8 v[104:107], a[96:97], a[40:41], v[104:107]// 000000003F44: D3F30068 1DA25160
	v_mfma_f32_16x16x32_fp8_fp8 v[104:107], a[98:99], a[42:43], v[104:107]// 000000003F4C: D3F30068 1DA25562
	buffer_load_dword v54, s[20:23], 0 offen lds               // 000000003F54: E0511000 80050036
	s_add_u32 m0, 0x700, s49                                   // 000000003F5C: 807C31FF 00000700
	v_mfma_f32_16x16x32_fp8_fp8 v[104:107], a[100:101], a[44:45], v[104:107]// 000000003F64: D3F30068 1DA25964
	v_mfma_f32_16x16x32_fp8_fp8 v[104:107], a[102:103], a[46:47], v[104:107]// 000000003F6C: D3F30068 1DA25D66
	buffer_load_dword v55, s[20:23], 0 offen lds               // 000000003F74: E0511000 80050037
	s_add_u32 m0, 0x800, s49                                   // 000000003F7C: 807C31FF 00000800
	v_mfma_f32_16x16x32_fp8_fp8 v[108:111], a[96:97], a[48:49], v[108:111]// 000000003F84: D3F3006C 1DB26160
	v_mfma_f32_16x16x32_fp8_fp8 v[108:111], a[98:99], a[50:51], v[108:111]// 000000003F8C: D3F3006C 1DB26562
	buffer_load_dword v56, s[20:23], 0 offen lds               // 000000003F94: E0511000 80050038
	s_add_u32 m0, 0x900, s49                                   // 000000003F9C: 807C31FF 00000900
	v_mfma_f32_16x16x32_fp8_fp8 v[108:111], a[100:101], a[52:53], v[108:111]// 000000003FA4: D3F3006C 1DB26964
	v_mfma_f32_16x16x32_fp8_fp8 v[108:111], a[102:103], a[54:55], v[108:111]// 000000003FAC: D3F3006C 1DB26D66
	buffer_load_dword v57, s[20:23], 0 offen lds               // 000000003FB4: E0511000 80050039
	s_add_u32 m0, 0, s48                                       // 000000003FBC: 807C3080
	v_mfma_f32_16x16x32_fp8_fp8 v[112:115], a[96:97], a[56:57], v[112:115]// 000000003FC0: D3F30070 1DC27160
	v_mfma_f32_16x16x32_fp8_fp8 v[112:115], a[98:99], a[58:59], v[112:115]// 000000003FC8: D3F30070 1DC27562
	v_mfma_f32_16x16x32_fp8_fp8 v[112:115], a[100:101], a[60:61], v[112:115]// 000000003FD0: D3F30070 1DC27964
	v_mfma_f32_16x16x32_fp8_fp8 v[112:115], a[102:103], a[62:63], v[112:115]// 000000003FD8: D3F30070 1DC27D66
	v_mfma_f32_16x16x32_fp8_fp8 v[116:119], a[96:97], a[64:65], v[116:119]// 000000003FE0: D3F30074 1DD28160
	v_mfma_f32_16x16x32_fp8_fp8 v[116:119], a[98:99], a[66:67], v[116:119]// 000000003FE8: D3F30074 1DD28562
	v_mfma_f32_16x16x32_fp8_fp8 v[116:119], a[100:101], a[68:69], v[116:119]// 000000003FF0: D3F30074 1DD28964
	v_mfma_f32_16x16x32_fp8_fp8 v[116:119], a[102:103], a[70:71], v[116:119]// 000000003FF8: D3F30074 1DD28D66
	v_mfma_f32_16x16x32_fp8_fp8 v[120:123], a[96:97], a[72:73], v[120:123]// 000000004000: D3F30078 1DE29160
	v_mfma_f32_16x16x32_fp8_fp8 v[120:123], a[98:99], a[74:75], v[120:123]// 000000004008: D3F30078 1DE29562
	v_mfma_f32_16x16x32_fp8_fp8 v[120:123], a[100:101], a[76:77], v[120:123]// 000000004010: D3F30078 1DE29964
	v_mfma_f32_16x16x32_fp8_fp8 v[120:123], a[102:103], a[78:79], v[120:123]// 000000004018: D3F30078 1DE29D66
	s_waitcnt vmcnt(18)                                        // 000000004020: BF8C4F72
	v_mfma_f32_16x16x32_fp8_fp8 v[124:127], a[104:105], a[40:41], v[124:127]// 000000004024: D3F3007C 1DF25168
	v_mfma_f32_16x16x32_fp8_fp8 v[124:127], a[106:107], a[42:43], v[124:127]// 00000000402C: D3F3007C 1DF2556A
	v_mfma_f32_16x16x32_fp8_fp8 v[124:127], a[108:109], a[44:45], v[124:127]// 000000004034: D3F3007C 1DF2596C
	v_mfma_f32_16x16x32_fp8_fp8 v[124:127], a[110:111], a[46:47], v[124:127]// 00000000403C: D3F3007C 1DF25D6E
	v_mfma_f32_16x16x32_fp8_fp8 v[128:131], a[104:105], a[48:49], v[128:131]// 000000004044: D3F30080 1E026168
	v_mfma_f32_16x16x32_fp8_fp8 v[128:131], a[106:107], a[50:51], v[128:131]// 00000000404C: D3F30080 1E02656A
	v_mfma_f32_16x16x32_fp8_fp8 v[128:131], a[108:109], a[52:53], v[128:131]// 000000004054: D3F30080 1E02696C
	v_mfma_f32_16x16x32_fp8_fp8 v[128:131], a[110:111], a[54:55], v[128:131]// 00000000405C: D3F30080 1E026D6E
	v_mfma_f32_16x16x32_fp8_fp8 v[132:135], a[104:105], a[56:57], v[132:135]// 000000004064: D3F30084 1E127168
	v_mfma_f32_16x16x32_fp8_fp8 v[132:135], a[106:107], a[58:59], v[132:135]// 00000000406C: D3F30084 1E12756A
	v_mfma_f32_16x16x32_fp8_fp8 v[132:135], a[108:109], a[60:61], v[132:135]// 000000004074: D3F30084 1E12796C
	v_mfma_f32_16x16x32_fp8_fp8 v[132:135], a[110:111], a[62:63], v[132:135]// 00000000407C: D3F30084 1E127D6E
	v_mfma_f32_16x16x32_fp8_fp8 v[136:139], a[104:105], a[64:65], v[136:139]// 000000004084: D3F30088 1E228168
	v_mfma_f32_16x16x32_fp8_fp8 v[136:139], a[106:107], a[66:67], v[136:139]// 00000000408C: D3F30088 1E22856A
	v_mfma_f32_16x16x32_fp8_fp8 v[136:139], a[108:109], a[68:69], v[136:139]// 000000004094: D3F30088 1E22896C
	v_mfma_f32_16x16x32_fp8_fp8 v[136:139], a[110:111], a[70:71], v[136:139]// 00000000409C: D3F30088 1E228D6E
	v_mfma_f32_16x16x32_fp8_fp8 v[140:143], a[104:105], a[72:73], v[140:143]// 0000000040A4: D3F3008C 1E329168
	v_mfma_f32_16x16x32_fp8_fp8 v[140:143], a[106:107], a[74:75], v[140:143]// 0000000040AC: D3F3008C 1E32956A
	s_add_u32 s60, 0x80, s80                                   // 0000000040B4: 803C50FF 00000080
	s_cmp_lt_u32 s60, s81                                      // 0000000040BC: BF0A513C
	s_cselect_b32 s83, s83, 0                                  // 0000000040C0: 85538053
	v_mfma_f32_16x16x32_fp8_fp8 v[140:143], a[108:109], a[76:77], v[140:143]// 0000000040C4: D3F3008C 1E32996C
	v_mfma_f32_16x16x32_fp8_fp8 v[140:143], a[110:111], a[78:79], v[140:143]// 0000000040CC: D3F3008C 1E329D6E
	s_waitcnt vmcnt(10)                                        // 0000000040D4: BF8C0F7A
	v_mfma_f32_16x16x32_fp8_fp8 v[144:147], a[112:113], a[40:41], v[144:147]// 0000000040D8: D3F30090 1E425170
	v_mfma_f32_16x16x32_fp8_fp8 v[144:147], a[114:115], a[42:43], v[144:147]// 0000000040E0: D3F30090 1E425572
	buffer_load_dwordx4 a[80:83], v58, s[24:27], 0 offen       // 0000000040E8: E05C1000 8086503A
	v_mfma_f32_16x16x32_fp8_fp8 v[144:147], a[116:117], a[44:45], v[144:147]// 0000000040F0: D3F30090 1E425974
	v_mfma_f32_16x16x32_fp8_fp8 v[144:147], a[118:119], a[46:47], v[144:147]// 0000000040F8: D3F30090 1E425D76
	ds_read_b128 a[0:3], v2                                    // 000000004100: DBFE0000 00000002
	ds_read_b128 a[4:7], v2 offset:64                          // 000000004108: DBFE0040 04000002
	v_mfma_f32_16x16x32_fp8_fp8 v[164:167], a[120:121], a[40:41], v[164:167]// 000000004110: D3F300A4 1E925178
	v_mfma_f32_16x16x32_fp8_fp8 v[164:167], a[122:123], a[42:43], v[164:167]// 000000004118: D3F300A4 1E92557A
	buffer_load_dwordx4 a[84:87], v58, s[24:27], 0 offen offset:1024// 000000004120: E05C1400 8086543A
	v_mfma_f32_16x16x32_fp8_fp8 v[164:167], a[124:125], a[44:45], v[164:167]// 000000004128: D3F300A4 1E92597C
	v_mfma_f32_16x16x32_fp8_fp8 v[164:167], a[126:127], a[46:47], v[164:167]// 000000004130: D3F300A4 1E925D7E
	ds_read_b128 a[8:11], v2 offset:512                        // 000000004138: DBFE0200 08000002
	ds_read_b128 a[12:15], v2 offset:576                       // 000000004140: DBFE0240 0C000002
	v_mfma_f32_16x16x32_fp8_fp8 v[184:187], a[128:129], a[40:41], v[184:187]// 000000004148: D3F300B8 1EE25180
	v_mfma_f32_16x16x32_fp8_fp8 v[184:187], a[130:131], a[42:43], v[184:187]// 000000004150: D3F300B8 1EE25582
	buffer_load_dwordx4 a[88:91], v59, s[24:27], 0 offen       // 000000004158: E05C1000 8086583B
	v_mfma_f32_16x16x32_fp8_fp8 v[184:187], a[132:133], a[44:45], v[184:187]// 000000004160: D3F300B8 1EE25984
	v_mfma_f32_16x16x32_fp8_fp8 v[184:187], a[134:135], a[46:47], v[184:187]// 000000004168: D3F300B8 1EE25D86
	ds_read_b128 a[16:19], v2 offset:1024                      // 000000004170: DBFE0400 10000002
	ds_read_b128 a[20:23], v2 offset:1088                      // 000000004178: DBFE0440 14000002
	v_mfma_f32_16x16x32_fp8_fp8 v[204:207], a[136:137], a[40:41], v[204:207]// 000000004180: D3F300CC 1F325188
	v_mfma_f32_16x16x32_fp8_fp8 v[204:207], a[138:139], a[42:43], v[204:207]// 000000004188: D3F300CC 1F32558A
	buffer_load_dwordx4 a[92:95], v59, s[24:27], 0 offen offset:1024// 000000004190: E05C1400 80865C3B
	v_mfma_f32_16x16x32_fp8_fp8 v[204:207], a[140:141], a[44:45], v[204:207]// 000000004198: D3F300CC 1F32598C
	v_mfma_f32_16x16x32_fp8_fp8 v[204:207], a[142:143], a[46:47], v[204:207]// 0000000041A0: D3F300CC 1F325D8E
	ds_read_b128 a[24:27], v2 offset:1536                      // 0000000041A8: DBFE0600 18000002
	ds_read_b128 a[28:31], v2 offset:1600                      // 0000000041B0: DBFE0640 1C000002
	v_mfma_f32_16x16x32_fp8_fp8 v[148:151], a[112:113], a[48:49], v[148:151]// 0000000041B8: D3F30094 1E526170
	v_mfma_f32_16x16x32_fp8_fp8 v[148:151], a[114:115], a[50:51], v[148:151]// 0000000041C0: D3F30094 1E526572
	buffer_load_dwordx4 a[96:99], v60, s[24:27], 0 offen       // 0000000041C8: E05C1000 8086603C
	v_mfma_f32_16x16x32_fp8_fp8 v[148:151], a[116:117], a[52:53], v[148:151]// 0000000041D0: D3F30094 1E526974
	v_mfma_f32_16x16x32_fp8_fp8 v[148:151], a[118:119], a[54:55], v[148:151]// 0000000041D8: D3F30094 1E526D76
	ds_read_b128 a[32:35], v2 offset:2048                      // 0000000041E0: DBFE0800 20000002
	ds_read_b128 a[36:39], v2 offset:2112                      // 0000000041E8: DBFE0840 24000002
	v_mfma_f32_16x16x32_fp8_fp8 v[168:171], a[120:121], a[48:49], v[168:171]// 0000000041F0: D3F300A8 1EA26178
	v_mfma_f32_16x16x32_fp8_fp8 v[168:171], a[122:123], a[50:51], v[168:171]// 0000000041F8: D3F300A8 1EA2657A
	buffer_load_dwordx4 a[100:103], v60, s[24:27], 0 offen offset:1024// 000000004200: E05C1400 8086643C
	v_mfma_f32_16x16x32_fp8_fp8 v[168:171], a[124:125], a[52:53], v[168:171]// 000000004208: D3F300A8 1EA2697C
	v_mfma_f32_16x16x32_fp8_fp8 v[168:171], a[126:127], a[54:55], v[168:171]// 000000004210: D3F300A8 1EA26D7E
	v_mfma_f32_16x16x32_fp8_fp8 v[188:191], a[128:129], a[48:49], v[188:191]// 000000004218: D3F300BC 1EF26180
	v_mfma_f32_16x16x32_fp8_fp8 v[188:191], a[130:131], a[50:51], v[188:191]// 000000004220: D3F300BC 1EF26582
	buffer_load_dwordx4 a[104:107], v61, s[24:27], 0 offen     // 000000004228: E05C1000 8086683D
	v_mfma_f32_16x16x32_fp8_fp8 v[188:191], a[132:133], a[52:53], v[188:191]// 000000004230: D3F300BC 1EF26984
	v_mfma_f32_16x16x32_fp8_fp8 v[188:191], a[134:135], a[54:55], v[188:191]// 000000004238: D3F300BC 1EF26D86
	v_mfma_f32_16x16x32_fp8_fp8 v[208:211], a[136:137], a[48:49], v[208:211]// 000000004240: D3F300D0 1F426188
	v_mfma_f32_16x16x32_fp8_fp8 v[208:211], a[138:139], a[50:51], v[208:211]// 000000004248: D3F300D0 1F42658A
	buffer_load_dwordx4 a[108:111], v61, s[24:27], 0 offen offset:1024// 000000004250: E05C1400 80866C3D
	v_mfma_f32_16x16x32_fp8_fp8 v[208:211], a[140:141], a[52:53], v[208:211]// 000000004258: D3F300D0 1F42698C
	v_mfma_f32_16x16x32_fp8_fp8 v[208:211], a[142:143], a[54:55], v[208:211]// 000000004260: D3F300D0 1F426D8E
	v_mfma_f32_16x16x32_fp8_fp8 v[152:155], a[112:113], a[56:57], v[152:155]// 000000004268: D3F30098 1E627170
	v_mfma_f32_16x16x32_fp8_fp8 v[152:155], a[114:115], a[58:59], v[152:155]// 000000004270: D3F30098 1E627572
	v_mfma_f32_16x16x32_fp8_fp8 v[152:155], a[116:117], a[60:61], v[152:155]// 000000004278: D3F30098 1E627974
	v_mfma_f32_16x16x32_fp8_fp8 v[152:155], a[118:119], a[62:63], v[152:155]// 000000004280: D3F30098 1E627D76
	v_mfma_f32_16x16x32_fp8_fp8 v[172:175], a[120:121], a[56:57], v[172:175]// 000000004288: D3F300AC 1EB27178
	v_mfma_f32_16x16x32_fp8_fp8 v[172:175], a[122:123], a[58:59], v[172:175]// 000000004290: D3F300AC 1EB2757A
	v_mfma_f32_16x16x32_fp8_fp8 v[172:175], a[124:125], a[60:61], v[172:175]// 000000004298: D3F300AC 1EB2797C
	v_mfma_f32_16x16x32_fp8_fp8 v[172:175], a[126:127], a[62:63], v[172:175]// 0000000042A0: D3F300AC 1EB27D7E
	v_mfma_f32_16x16x32_fp8_fp8 v[192:195], a[128:129], a[56:57], v[192:195]// 0000000042A8: D3F300C0 1F027180
	v_mfma_f32_16x16x32_fp8_fp8 v[192:195], a[130:131], a[58:59], v[192:195]// 0000000042B0: D3F300C0 1F027582
	v_mfma_f32_16x16x32_fp8_fp8 v[192:195], a[132:133], a[60:61], v[192:195]// 0000000042B8: D3F300C0 1F027984
	v_mfma_f32_16x16x32_fp8_fp8 v[192:195], a[134:135], a[62:63], v[192:195]// 0000000042C0: D3F300C0 1F027D86
	v_mfma_f32_16x16x32_fp8_fp8 v[212:215], a[136:137], a[56:57], v[212:215]// 0000000042C8: D3F300D4 1F527188
	v_mfma_f32_16x16x32_fp8_fp8 v[212:215], a[138:139], a[58:59], v[212:215]// 0000000042D0: D3F300D4 1F52758A
	v_mfma_f32_16x16x32_fp8_fp8 v[212:215], a[140:141], a[60:61], v[212:215]// 0000000042D8: D3F300D4 1F52798C
	v_mfma_f32_16x16x32_fp8_fp8 v[212:215], a[142:143], a[62:63], v[212:215]// 0000000042E0: D3F300D4 1F527D8E
	v_mfma_f32_16x16x32_fp8_fp8 v[156:159], a[112:113], a[64:65], v[156:159]// 0000000042E8: D3F3009C 1E728170
	v_mfma_f32_16x16x32_fp8_fp8 v[156:159], a[114:115], a[66:67], v[156:159]// 0000000042F0: D3F3009C 1E728572
	v_mfma_f32_16x16x32_fp8_fp8 v[156:159], a[116:117], a[68:69], v[156:159]// 0000000042F8: D3F3009C 1E728974
	v_mfma_f32_16x16x32_fp8_fp8 v[156:159], a[118:119], a[70:71], v[156:159]// 000000004300: D3F3009C 1E728D76
	v_mfma_f32_16x16x32_fp8_fp8 v[176:179], a[120:121], a[64:65], v[176:179]// 000000004308: D3F300B0 1EC28178
	v_mfma_f32_16x16x32_fp8_fp8 v[176:179], a[122:123], a[66:67], v[176:179]// 000000004310: D3F300B0 1EC2857A
	v_mfma_f32_16x16x32_fp8_fp8 v[176:179], a[124:125], a[68:69], v[176:179]// 000000004318: D3F300B0 1EC2897C
	v_mfma_f32_16x16x32_fp8_fp8 v[176:179], a[126:127], a[70:71], v[176:179]// 000000004320: D3F300B0 1EC28D7E
	v_mfma_f32_16x16x32_fp8_fp8 v[196:199], a[128:129], a[64:65], v[196:199]// 000000004328: D3F300C4 1F128180
	v_mfma_f32_16x16x32_fp8_fp8 v[196:199], a[130:131], a[66:67], v[196:199]// 000000004330: D3F300C4 1F128582
	v_mfma_f32_16x16x32_fp8_fp8 v[196:199], a[132:133], a[68:69], v[196:199]// 000000004338: D3F300C4 1F128984
	v_mfma_f32_16x16x32_fp8_fp8 v[196:199], a[134:135], a[70:71], v[196:199]// 000000004340: D3F300C4 1F128D86
	v_mfma_f32_16x16x32_fp8_fp8 v[216:219], a[136:137], a[64:65], v[216:219]// 000000004348: D3F300D8 1F628188
	v_mfma_f32_16x16x32_fp8_fp8 v[216:219], a[138:139], a[66:67], v[216:219]// 000000004350: D3F300D8 1F62858A
	v_mfma_f32_16x16x32_fp8_fp8 v[216:219], a[140:141], a[68:69], v[216:219]// 000000004358: D3F300D8 1F62898C
	v_mfma_f32_16x16x32_fp8_fp8 v[216:219], a[142:143], a[70:71], v[216:219]// 000000004360: D3F300D8 1F628D8E
	v_mfma_f32_16x16x32_fp8_fp8 v[160:163], a[112:113], a[72:73], v[160:163]// 000000004368: D3F300A0 1E829170
	v_mfma_f32_16x16x32_fp8_fp8 v[160:163], a[114:115], a[74:75], v[160:163]// 000000004370: D3F300A0 1E829572
	v_mfma_f32_16x16x32_fp8_fp8 v[160:163], a[116:117], a[76:77], v[160:163]// 000000004378: D3F300A0 1E829974
	v_mfma_f32_16x16x32_fp8_fp8 v[160:163], a[118:119], a[78:79], v[160:163]// 000000004380: D3F300A0 1E829D76
	v_mfma_f32_16x16x32_fp8_fp8 v[180:183], a[120:121], a[72:73], v[180:183]// 000000004388: D3F300B4 1ED29178
	v_mfma_f32_16x16x32_fp8_fp8 v[180:183], a[122:123], a[74:75], v[180:183]// 000000004390: D3F300B4 1ED2957A
	v_mfma_f32_16x16x32_fp8_fp8 v[180:183], a[124:125], a[76:77], v[180:183]// 000000004398: D3F300B4 1ED2997C
	v_mfma_f32_16x16x32_fp8_fp8 v[180:183], a[126:127], a[78:79], v[180:183]// 0000000043A0: D3F300B4 1ED29D7E
	v_mfma_f32_16x16x32_fp8_fp8 v[200:203], a[128:129], a[72:73], v[200:203]// 0000000043A8: D3F300C8 1F229180
	v_mfma_f32_16x16x32_fp8_fp8 v[200:203], a[130:131], a[74:75], v[200:203]// 0000000043B0: D3F300C8 1F229582
	v_mfma_f32_16x16x32_fp8_fp8 v[200:203], a[132:133], a[76:77], v[200:203]// 0000000043B8: D3F300C8 1F229984
	s_add_u32 s60, 0x180, s80                                  // 0000000043C0: 803C50FF 00000180
	s_cmp_lt_u32 s60, s81                                      // 0000000043C8: BF0A513C
	s_cselect_b32 s57, s57, 0                                  // 0000000043CC: 85398039
	v_mfma_f32_16x16x32_fp8_fp8 v[200:203], a[134:135], a[78:79], v[200:203]// 0000000043D0: D3F300C8 1F229D86
	s_add_u32 s60, 0x100, s80                                  // 0000000043D8: 803C50FF 00000100
	s_cmp_lt_u32 s60, s81                                      // 0000000043E0: BF0A513C
	s_cselect_b32 s58, s58, 0                                  // 0000000043E4: 853A803A
	v_mfma_f32_16x16x32_fp8_fp8 v[220:223], a[136:137], a[72:73], v[220:223]// 0000000043E8: D3F300DC 1F729188
	s_add_u32 s24, s58, s24                                    // 0000000043F0: 8018183A
	s_addc_u32 s25, 0, s25                                     // 0000000043F4: 82191980
	v_mfma_f32_16x16x32_fp8_fp8 v[220:223], a[138:139], a[74:75], v[220:223]// 0000000043F8: D3F300DC 1F72958A
	s_add_u32 s20, s57, s20                                    // 000000004400: 80141439
	s_addc_u32 s21, 0, s21                                     // 000000004404: 82151580
	v_mfma_f32_16x16x32_fp8_fp8 v[220:223], a[140:141], a[76:77], v[220:223]// 000000004408: D3F300DC 1F72998C
	s_add_u32 s84, s83, s84                                    // 000000004410: 80545453
	s_addc_u32 s85, 0, s85                                     // 000000004414: 82555580
	v_mfma_f32_16x16x32_fp8_fp8 v[220:223], a[142:143], a[78:79], v[220:223]// 000000004418: D3F300DC 1F729D8E
	s_addk_i32 s80, 0x80                                       // 000000004420: B7500080
	s_cmp_lt_i32 s80, s81                                      // 000000004424: BF045150
	s_cbranch_scc0 label_068C                                  // 000000004428: BF840001
	s_branch label_031F                                        // 00000000442C: BF82FC93

0000000000004430 <label_068C>:
	v_mul_f32_dpp v64, v24, v64 row_newbcast:0 row_mask:0xf bank_mask:0xf// 000000004430: 0A8080FA FF015018
	v_mul_f32_dpp v65, v24, v65 row_newbcast:1 row_mask:0xf bank_mask:0xf// 000000004438: 0A8282FA FF015118
	v_mul_f32_dpp v66, v24, v66 row_newbcast:2 row_mask:0xf bank_mask:0xf// 000000004440: 0A8484FA FF015218
	v_mul_f32_dpp v67, v24, v67 row_newbcast:3 row_mask:0xf bank_mask:0xf// 000000004448: 0A8686FA FF015318
	v_mul_f32_dpp v68, v24, v68 row_newbcast:0 row_mask:0xf bank_mask:0xf// 000000004450: 0A8888FA FF015018
	v_mul_f32_dpp v69, v24, v69 row_newbcast:1 row_mask:0xf bank_mask:0xf// 000000004458: 0A8A8AFA FF015118
	v_mul_f32_dpp v70, v24, v70 row_newbcast:2 row_mask:0xf bank_mask:0xf// 000000004460: 0A8C8CFA FF015218
	v_mul_f32_dpp v71, v24, v71 row_newbcast:3 row_mask:0xf bank_mask:0xf// 000000004468: 0A8E8EFA FF015318
	v_mul_f32_dpp v72, v24, v72 row_newbcast:0 row_mask:0xf bank_mask:0xf// 000000004470: 0A9090FA FF015018
	v_mul_f32_dpp v73, v24, v73 row_newbcast:1 row_mask:0xf bank_mask:0xf// 000000004478: 0A9292FA FF015118
	v_mul_f32_dpp v74, v24, v74 row_newbcast:2 row_mask:0xf bank_mask:0xf// 000000004480: 0A9494FA FF015218
	v_mul_f32_dpp v75, v24, v75 row_newbcast:3 row_mask:0xf bank_mask:0xf// 000000004488: 0A9696FA FF015318
	v_mul_f32_dpp v76, v24, v76 row_newbcast:0 row_mask:0xf bank_mask:0xf// 000000004490: 0A9898FA FF015018
	v_mul_f32_dpp v77, v24, v77 row_newbcast:1 row_mask:0xf bank_mask:0xf// 000000004498: 0A9A9AFA FF015118
	v_mul_f32_dpp v78, v24, v78 row_newbcast:2 row_mask:0xf bank_mask:0xf// 0000000044A0: 0A9C9CFA FF015218
	v_mul_f32_dpp v79, v24, v79 row_newbcast:3 row_mask:0xf bank_mask:0xf// 0000000044A8: 0A9E9EFA FF015318
	v_mul_f32_dpp v80, v24, v80 row_newbcast:0 row_mask:0xf bank_mask:0xf// 0000000044B0: 0AA0A0FA FF015018
	v_mul_f32_dpp v81, v24, v81 row_newbcast:1 row_mask:0xf bank_mask:0xf// 0000000044B8: 0AA2A2FA FF015118
	v_mul_f32_dpp v82, v24, v82 row_newbcast:2 row_mask:0xf bank_mask:0xf// 0000000044C0: 0AA4A4FA FF015218
	v_mul_f32_dpp v83, v24, v83 row_newbcast:3 row_mask:0xf bank_mask:0xf// 0000000044C8: 0AA6A6FA FF015318
	v_mul_f32_dpp v84, v24, v84 row_newbcast:4 row_mask:0xf bank_mask:0xf// 0000000044D0: 0AA8A8FA FF015418
	v_mul_f32_dpp v85, v24, v85 row_newbcast:5 row_mask:0xf bank_mask:0xf// 0000000044D8: 0AAAAAFA FF015518
	v_mul_f32_dpp v86, v24, v86 row_newbcast:6 row_mask:0xf bank_mask:0xf// 0000000044E0: 0AACACFA FF015618
	v_mul_f32_dpp v87, v24, v87 row_newbcast:7 row_mask:0xf bank_mask:0xf// 0000000044E8: 0AAEAEFA FF015718
	v_mul_f32_dpp v88, v24, v88 row_newbcast:4 row_mask:0xf bank_mask:0xf// 0000000044F0: 0AB0B0FA FF015418
	v_mul_f32_dpp v89, v24, v89 row_newbcast:5 row_mask:0xf bank_mask:0xf// 0000000044F8: 0AB2B2FA FF015518
	v_mul_f32_dpp v90, v24, v90 row_newbcast:6 row_mask:0xf bank_mask:0xf// 000000004500: 0AB4B4FA FF015618
	v_mul_f32_dpp v91, v24, v91 row_newbcast:7 row_mask:0xf bank_mask:0xf// 000000004508: 0AB6B6FA FF015718
	v_mul_f32_dpp v92, v24, v92 row_newbcast:4 row_mask:0xf bank_mask:0xf// 000000004510: 0AB8B8FA FF015418
	v_mul_f32_dpp v93, v24, v93 row_newbcast:5 row_mask:0xf bank_mask:0xf// 000000004518: 0ABABAFA FF015518
	v_mul_f32_dpp v94, v24, v94 row_newbcast:6 row_mask:0xf bank_mask:0xf// 000000004520: 0ABCBCFA FF015618
	v_mul_f32_dpp v95, v24, v95 row_newbcast:7 row_mask:0xf bank_mask:0xf// 000000004528: 0ABEBEFA FF015718
	v_mul_f32_dpp v96, v24, v96 row_newbcast:4 row_mask:0xf bank_mask:0xf// 000000004530: 0AC0C0FA FF015418
	v_mul_f32_dpp v97, v24, v97 row_newbcast:5 row_mask:0xf bank_mask:0xf// 000000004538: 0AC2C2FA FF015518
	v_mul_f32_dpp v98, v24, v98 row_newbcast:6 row_mask:0xf bank_mask:0xf// 000000004540: 0AC4C4FA FF015618
	v_mul_f32_dpp v99, v24, v99 row_newbcast:7 row_mask:0xf bank_mask:0xf// 000000004548: 0AC6C6FA FF015718
	v_mul_f32_dpp v100, v24, v100 row_newbcast:4 row_mask:0xf bank_mask:0xf// 000000004550: 0AC8C8FA FF015418
	v_mul_f32_dpp v101, v24, v101 row_newbcast:5 row_mask:0xf bank_mask:0xf// 000000004558: 0ACACAFA FF015518
	v_mul_f32_dpp v102, v24, v102 row_newbcast:6 row_mask:0xf bank_mask:0xf// 000000004560: 0ACCCCFA FF015618
	v_mul_f32_dpp v103, v24, v103 row_newbcast:7 row_mask:0xf bank_mask:0xf// 000000004568: 0ACECEFA FF015718
	v_mul_f32_dpp v104, v24, v104 row_newbcast:8 row_mask:0xf bank_mask:0xf// 000000004570: 0AD0D0FA FF015818
	v_mul_f32_dpp v105, v24, v105 row_newbcast:9 row_mask:0xf bank_mask:0xf// 000000004578: 0AD2D2FA FF015918
	v_mul_f32_dpp v106, v24, v106 row_newbcast:10 row_mask:0xf bank_mask:0xf// 000000004580: 0AD4D4FA FF015A18
	v_mul_f32_dpp v107, v24, v107 row_newbcast:11 row_mask:0xf bank_mask:0xf// 000000004588: 0AD6D6FA FF015B18
	v_mul_f32_dpp v108, v24, v108 row_newbcast:8 row_mask:0xf bank_mask:0xf// 000000004590: 0AD8D8FA FF015818
	v_mul_f32_dpp v109, v24, v109 row_newbcast:9 row_mask:0xf bank_mask:0xf// 000000004598: 0ADADAFA FF015918
	v_mul_f32_dpp v110, v24, v110 row_newbcast:10 row_mask:0xf bank_mask:0xf// 0000000045A0: 0ADCDCFA FF015A18
	v_mul_f32_dpp v111, v24, v111 row_newbcast:11 row_mask:0xf bank_mask:0xf// 0000000045A8: 0ADEDEFA FF015B18
	v_mul_f32_dpp v112, v24, v112 row_newbcast:8 row_mask:0xf bank_mask:0xf// 0000000045B0: 0AE0E0FA FF015818
	v_mul_f32_dpp v113, v24, v113 row_newbcast:9 row_mask:0xf bank_mask:0xf// 0000000045B8: 0AE2E2FA FF015918
	v_mul_f32_dpp v114, v24, v114 row_newbcast:10 row_mask:0xf bank_mask:0xf// 0000000045C0: 0AE4E4FA FF015A18
	v_mul_f32_dpp v115, v24, v115 row_newbcast:11 row_mask:0xf bank_mask:0xf// 0000000045C8: 0AE6E6FA FF015B18
	v_mul_f32_dpp v116, v24, v116 row_newbcast:8 row_mask:0xf bank_mask:0xf// 0000000045D0: 0AE8E8FA FF015818
	v_mul_f32_dpp v117, v24, v117 row_newbcast:9 row_mask:0xf bank_mask:0xf// 0000000045D8: 0AEAEAFA FF015918
	v_mul_f32_dpp v118, v24, v118 row_newbcast:10 row_mask:0xf bank_mask:0xf// 0000000045E0: 0AECECFA FF015A18
	v_mul_f32_dpp v119, v24, v119 row_newbcast:11 row_mask:0xf bank_mask:0xf// 0000000045E8: 0AEEEEFA FF015B18
	v_mul_f32_dpp v120, v24, v120 row_newbcast:8 row_mask:0xf bank_mask:0xf// 0000000045F0: 0AF0F0FA FF015818
	v_mul_f32_dpp v121, v24, v121 row_newbcast:9 row_mask:0xf bank_mask:0xf// 0000000045F8: 0AF2F2FA FF015918
	v_mul_f32_dpp v122, v24, v122 row_newbcast:10 row_mask:0xf bank_mask:0xf// 000000004600: 0AF4F4FA FF015A18
	v_mul_f32_dpp v123, v24, v123 row_newbcast:11 row_mask:0xf bank_mask:0xf// 000000004608: 0AF6F6FA FF015B18
	v_mul_f32_dpp v124, v24, v124 row_newbcast:12 row_mask:0xf bank_mask:0xf// 000000004610: 0AF8F8FA FF015C18
	v_mul_f32_dpp v125, v24, v125 row_newbcast:13 row_mask:0xf bank_mask:0xf// 000000004618: 0AFAFAFA FF015D18
	v_mul_f32_dpp v126, v24, v126 row_newbcast:14 row_mask:0xf bank_mask:0xf// 000000004620: 0AFCFCFA FF015E18
	v_mul_f32_dpp v127, v24, v127 row_newbcast:15 row_mask:0xf bank_mask:0xf// 000000004628: 0AFEFEFA FF015F18
	v_mul_f32_dpp v128, v24, v128 row_newbcast:12 row_mask:0xf bank_mask:0xf// 000000004630: 0B0100FA FF015C18
	v_mul_f32_dpp v129, v24, v129 row_newbcast:13 row_mask:0xf bank_mask:0xf// 000000004638: 0B0302FA FF015D18
	v_mul_f32_dpp v130, v24, v130 row_newbcast:14 row_mask:0xf bank_mask:0xf// 000000004640: 0B0504FA FF015E18
	v_mul_f32_dpp v131, v24, v131 row_newbcast:15 row_mask:0xf bank_mask:0xf// 000000004648: 0B0706FA FF015F18
	v_mul_f32_dpp v132, v24, v132 row_newbcast:12 row_mask:0xf bank_mask:0xf// 000000004650: 0B0908FA FF015C18
	v_mul_f32_dpp v133, v24, v133 row_newbcast:13 row_mask:0xf bank_mask:0xf// 000000004658: 0B0B0AFA FF015D18
	v_mul_f32_dpp v134, v24, v134 row_newbcast:14 row_mask:0xf bank_mask:0xf// 000000004660: 0B0D0CFA FF015E18
	v_mul_f32_dpp v135, v24, v135 row_newbcast:15 row_mask:0xf bank_mask:0xf// 000000004668: 0B0F0EFA FF015F18
	v_mul_f32_dpp v136, v24, v136 row_newbcast:12 row_mask:0xf bank_mask:0xf// 000000004670: 0B1110FA FF015C18
	v_mul_f32_dpp v137, v24, v137 row_newbcast:13 row_mask:0xf bank_mask:0xf// 000000004678: 0B1312FA FF015D18
	v_mul_f32_dpp v138, v24, v138 row_newbcast:14 row_mask:0xf bank_mask:0xf// 000000004680: 0B1514FA FF015E18
	v_mul_f32_dpp v139, v24, v139 row_newbcast:15 row_mask:0xf bank_mask:0xf// 000000004688: 0B1716FA FF015F18
	v_mul_f32_dpp v140, v24, v140 row_newbcast:12 row_mask:0xf bank_mask:0xf// 000000004690: 0B1918FA FF015C18
	v_mul_f32_dpp v141, v24, v141 row_newbcast:13 row_mask:0xf bank_mask:0xf// 000000004698: 0B1B1AFA FF015D18
	v_mul_f32_dpp v142, v24, v142 row_newbcast:14 row_mask:0xf bank_mask:0xf// 0000000046A0: 0B1D1CFA FF015E18
	v_mul_f32_dpp v143, v24, v143 row_newbcast:15 row_mask:0xf bank_mask:0xf// 0000000046A8: 0B1F1EFA FF015F18
	v_mul_f32_dpp v144, v26, v144 row_newbcast:0 row_mask:0xf bank_mask:0xf// 0000000046B0: 0B2120FA FF01501A
	v_mul_f32_dpp v145, v26, v145 row_newbcast:1 row_mask:0xf bank_mask:0xf// 0000000046B8: 0B2322FA FF01511A
	v_mul_f32_dpp v146, v26, v146 row_newbcast:2 row_mask:0xf bank_mask:0xf// 0000000046C0: 0B2524FA FF01521A
	v_mul_f32_dpp v147, v26, v147 row_newbcast:3 row_mask:0xf bank_mask:0xf// 0000000046C8: 0B2726FA FF01531A
	v_mul_f32_dpp v148, v26, v148 row_newbcast:0 row_mask:0xf bank_mask:0xf// 0000000046D0: 0B2928FA FF01501A
	v_mul_f32_dpp v149, v26, v149 row_newbcast:1 row_mask:0xf bank_mask:0xf// 0000000046D8: 0B2B2AFA FF01511A
	v_mul_f32_dpp v150, v26, v150 row_newbcast:2 row_mask:0xf bank_mask:0xf// 0000000046E0: 0B2D2CFA FF01521A
	v_mul_f32_dpp v151, v26, v151 row_newbcast:3 row_mask:0xf bank_mask:0xf// 0000000046E8: 0B2F2EFA FF01531A
	v_mul_f32_dpp v152, v26, v152 row_newbcast:0 row_mask:0xf bank_mask:0xf// 0000000046F0: 0B3130FA FF01501A
	v_mul_f32_dpp v153, v26, v153 row_newbcast:1 row_mask:0xf bank_mask:0xf// 0000000046F8: 0B3332FA FF01511A
	v_mul_f32_dpp v154, v26, v154 row_newbcast:2 row_mask:0xf bank_mask:0xf// 000000004700: 0B3534FA FF01521A
	v_mul_f32_dpp v155, v26, v155 row_newbcast:3 row_mask:0xf bank_mask:0xf// 000000004708: 0B3736FA FF01531A
	v_mul_f32_dpp v156, v26, v156 row_newbcast:0 row_mask:0xf bank_mask:0xf// 000000004710: 0B3938FA FF01501A
	v_mul_f32_dpp v157, v26, v157 row_newbcast:1 row_mask:0xf bank_mask:0xf// 000000004718: 0B3B3AFA FF01511A
	v_mul_f32_dpp v158, v26, v158 row_newbcast:2 row_mask:0xf bank_mask:0xf// 000000004720: 0B3D3CFA FF01521A
	v_mul_f32_dpp v159, v26, v159 row_newbcast:3 row_mask:0xf bank_mask:0xf// 000000004728: 0B3F3EFA FF01531A
	v_mul_f32_dpp v160, v26, v160 row_newbcast:0 row_mask:0xf bank_mask:0xf// 000000004730: 0B4140FA FF01501A
	v_mul_f32_dpp v161, v26, v161 row_newbcast:1 row_mask:0xf bank_mask:0xf// 000000004738: 0B4342FA FF01511A
	v_mul_f32_dpp v162, v26, v162 row_newbcast:2 row_mask:0xf bank_mask:0xf// 000000004740: 0B4544FA FF01521A
	v_mul_f32_dpp v163, v26, v163 row_newbcast:3 row_mask:0xf bank_mask:0xf// 000000004748: 0B4746FA FF01531A
	v_mul_f32_dpp v164, v26, v164 row_newbcast:4 row_mask:0xf bank_mask:0xf// 000000004750: 0B4948FA FF01541A
	v_mul_f32_dpp v165, v26, v165 row_newbcast:5 row_mask:0xf bank_mask:0xf// 000000004758: 0B4B4AFA FF01551A
	v_mul_f32_dpp v166, v26, v166 row_newbcast:6 row_mask:0xf bank_mask:0xf// 000000004760: 0B4D4CFA FF01561A
	v_mul_f32_dpp v167, v26, v167 row_newbcast:7 row_mask:0xf bank_mask:0xf// 000000004768: 0B4F4EFA FF01571A
	v_mul_f32_dpp v168, v26, v168 row_newbcast:4 row_mask:0xf bank_mask:0xf// 000000004770: 0B5150FA FF01541A
	v_mul_f32_dpp v169, v26, v169 row_newbcast:5 row_mask:0xf bank_mask:0xf// 000000004778: 0B5352FA FF01551A
	v_mul_f32_dpp v170, v26, v170 row_newbcast:6 row_mask:0xf bank_mask:0xf// 000000004780: 0B5554FA FF01561A
	v_mul_f32_dpp v171, v26, v171 row_newbcast:7 row_mask:0xf bank_mask:0xf// 000000004788: 0B5756FA FF01571A
	v_mul_f32_dpp v172, v26, v172 row_newbcast:4 row_mask:0xf bank_mask:0xf// 000000004790: 0B5958FA FF01541A
	v_mul_f32_dpp v173, v26, v173 row_newbcast:5 row_mask:0xf bank_mask:0xf// 000000004798: 0B5B5AFA FF01551A
	v_mul_f32_dpp v174, v26, v174 row_newbcast:6 row_mask:0xf bank_mask:0xf// 0000000047A0: 0B5D5CFA FF01561A
	v_mul_f32_dpp v175, v26, v175 row_newbcast:7 row_mask:0xf bank_mask:0xf// 0000000047A8: 0B5F5EFA FF01571A
	v_mul_f32_dpp v176, v26, v176 row_newbcast:4 row_mask:0xf bank_mask:0xf// 0000000047B0: 0B6160FA FF01541A
	v_mul_f32_dpp v177, v26, v177 row_newbcast:5 row_mask:0xf bank_mask:0xf// 0000000047B8: 0B6362FA FF01551A
	v_mul_f32_dpp v178, v26, v178 row_newbcast:6 row_mask:0xf bank_mask:0xf// 0000000047C0: 0B6564FA FF01561A
	v_mul_f32_dpp v179, v26, v179 row_newbcast:7 row_mask:0xf bank_mask:0xf// 0000000047C8: 0B6766FA FF01571A
	v_mul_f32_dpp v180, v26, v180 row_newbcast:4 row_mask:0xf bank_mask:0xf// 0000000047D0: 0B6968FA FF01541A
	v_mul_f32_dpp v181, v26, v181 row_newbcast:5 row_mask:0xf bank_mask:0xf// 0000000047D8: 0B6B6AFA FF01551A
	v_mul_f32_dpp v182, v26, v182 row_newbcast:6 row_mask:0xf bank_mask:0xf// 0000000047E0: 0B6D6CFA FF01561A
	v_mul_f32_dpp v183, v26, v183 row_newbcast:7 row_mask:0xf bank_mask:0xf// 0000000047E8: 0B6F6EFA FF01571A
	v_mul_f32_dpp v184, v26, v184 row_newbcast:8 row_mask:0xf bank_mask:0xf// 0000000047F0: 0B7170FA FF01581A
	v_mul_f32_dpp v185, v26, v185 row_newbcast:9 row_mask:0xf bank_mask:0xf// 0000000047F8: 0B7372FA FF01591A
	v_mul_f32_dpp v186, v26, v186 row_newbcast:10 row_mask:0xf bank_mask:0xf// 000000004800: 0B7574FA FF015A1A
	v_mul_f32_dpp v187, v26, v187 row_newbcast:11 row_mask:0xf bank_mask:0xf// 000000004808: 0B7776FA FF015B1A
	v_mul_f32_dpp v188, v26, v188 row_newbcast:8 row_mask:0xf bank_mask:0xf// 000000004810: 0B7978FA FF01581A
	v_mul_f32_dpp v189, v26, v189 row_newbcast:9 row_mask:0xf bank_mask:0xf// 000000004818: 0B7B7AFA FF01591A
	v_mul_f32_dpp v190, v26, v190 row_newbcast:10 row_mask:0xf bank_mask:0xf// 000000004820: 0B7D7CFA FF015A1A
	v_mul_f32_dpp v191, v26, v191 row_newbcast:11 row_mask:0xf bank_mask:0xf// 000000004828: 0B7F7EFA FF015B1A
	v_mul_f32_dpp v192, v26, v192 row_newbcast:8 row_mask:0xf bank_mask:0xf// 000000004830: 0B8180FA FF01581A
	v_mul_f32_dpp v193, v26, v193 row_newbcast:9 row_mask:0xf bank_mask:0xf// 000000004838: 0B8382FA FF01591A
	v_mul_f32_dpp v194, v26, v194 row_newbcast:10 row_mask:0xf bank_mask:0xf// 000000004840: 0B8584FA FF015A1A
	v_mul_f32_dpp v195, v26, v195 row_newbcast:11 row_mask:0xf bank_mask:0xf// 000000004848: 0B8786FA FF015B1A
	v_mul_f32_dpp v196, v26, v196 row_newbcast:8 row_mask:0xf bank_mask:0xf// 000000004850: 0B8988FA FF01581A
	v_mul_f32_dpp v197, v26, v197 row_newbcast:9 row_mask:0xf bank_mask:0xf// 000000004858: 0B8B8AFA FF01591A
	v_mul_f32_dpp v198, v26, v198 row_newbcast:10 row_mask:0xf bank_mask:0xf// 000000004860: 0B8D8CFA FF015A1A
	v_mul_f32_dpp v199, v26, v199 row_newbcast:11 row_mask:0xf bank_mask:0xf// 000000004868: 0B8F8EFA FF015B1A
	v_mul_f32_dpp v200, v26, v200 row_newbcast:8 row_mask:0xf bank_mask:0xf// 000000004870: 0B9190FA FF01581A
	v_mul_f32_dpp v201, v26, v201 row_newbcast:9 row_mask:0xf bank_mask:0xf// 000000004878: 0B9392FA FF01591A
	v_mul_f32_dpp v202, v26, v202 row_newbcast:10 row_mask:0xf bank_mask:0xf// 000000004880: 0B9594FA FF015A1A
	v_mul_f32_dpp v203, v26, v203 row_newbcast:11 row_mask:0xf bank_mask:0xf// 000000004888: 0B9796FA FF015B1A
	v_mul_f32_dpp v204, v26, v204 row_newbcast:12 row_mask:0xf bank_mask:0xf// 000000004890: 0B9998FA FF015C1A
	v_mul_f32_dpp v205, v26, v205 row_newbcast:13 row_mask:0xf bank_mask:0xf// 000000004898: 0B9B9AFA FF015D1A
	v_mul_f32_dpp v206, v26, v206 row_newbcast:14 row_mask:0xf bank_mask:0xf// 0000000048A0: 0B9D9CFA FF015E1A
	v_mul_f32_dpp v207, v26, v207 row_newbcast:15 row_mask:0xf bank_mask:0xf// 0000000048A8: 0B9F9EFA FF015F1A
	v_mul_f32_dpp v208, v26, v208 row_newbcast:12 row_mask:0xf bank_mask:0xf// 0000000048B0: 0BA1A0FA FF015C1A
	v_mul_f32_dpp v209, v26, v209 row_newbcast:13 row_mask:0xf bank_mask:0xf// 0000000048B8: 0BA3A2FA FF015D1A
	v_mul_f32_dpp v210, v26, v210 row_newbcast:14 row_mask:0xf bank_mask:0xf// 0000000048C0: 0BA5A4FA FF015E1A
	v_mul_f32_dpp v211, v26, v211 row_newbcast:15 row_mask:0xf bank_mask:0xf// 0000000048C8: 0BA7A6FA FF015F1A
	v_mul_f32_dpp v212, v26, v212 row_newbcast:12 row_mask:0xf bank_mask:0xf// 0000000048D0: 0BA9A8FA FF015C1A
	v_mul_f32_dpp v213, v26, v213 row_newbcast:13 row_mask:0xf bank_mask:0xf// 0000000048D8: 0BABAAFA FF015D1A
	v_mul_f32_dpp v214, v26, v214 row_newbcast:14 row_mask:0xf bank_mask:0xf// 0000000048E0: 0BADACFA FF015E1A
	v_mul_f32_dpp v215, v26, v215 row_newbcast:15 row_mask:0xf bank_mask:0xf// 0000000048E8: 0BAFAEFA FF015F1A
	v_mul_f32_dpp v216, v26, v216 row_newbcast:12 row_mask:0xf bank_mask:0xf// 0000000048F0: 0BB1B0FA FF015C1A
	v_mul_f32_dpp v217, v26, v217 row_newbcast:13 row_mask:0xf bank_mask:0xf// 0000000048F8: 0BB3B2FA FF015D1A
	v_mul_f32_dpp v218, v26, v218 row_newbcast:14 row_mask:0xf bank_mask:0xf// 000000004900: 0BB5B4FA FF015E1A
	v_mul_f32_dpp v219, v26, v219 row_newbcast:15 row_mask:0xf bank_mask:0xf// 000000004908: 0BB7B6FA FF015F1A
	v_mul_f32_dpp v220, v26, v220 row_newbcast:12 row_mask:0xf bank_mask:0xf// 000000004910: 0BB9B8FA FF015C1A
	v_mul_f32_dpp v221, v26, v221 row_newbcast:13 row_mask:0xf bank_mask:0xf// 000000004918: 0BBBBAFA FF015D1A
	v_mul_f32_dpp v222, v26, v222 row_newbcast:14 row_mask:0xf bank_mask:0xf// 000000004920: 0BBDBCFA FF015E1A
	v_mul_f32_dpp v223, v26, v223 row_newbcast:15 row_mask:0xf bank_mask:0xf// 000000004928: 0BBFBEFA FF015F1A
	v_mul_f32_e32 v33, v33, v224                               // 000000004930: 0A43C121
	v_mov_b32_e32 v4, v33                                      // 000000004934: 7E080321
	v_mov_b32_e32 v5, v4                                       // 000000004938: 7E0A0304
	v_pk_mul_f32 v[64:65], v[4:5], v[64:65]                    // 00000000493C: D3B14040 18028104
	v_pk_mul_f32 v[144:145], v[4:5], v[144:145]                // 000000004944: D3B14090 18032104
	v_pk_mul_f32 v[66:67], v[4:5], v[66:67]                    // 00000000494C: D3B14042 18028504
	v_pk_mul_f32 v[146:147], v[4:5], v[146:147]                // 000000004954: D3B14092 18032504
	v_pk_mul_f32 v[84:85], v[4:5], v[84:85]                    // 00000000495C: D3B14054 1802A904
	v_pk_mul_f32 v[164:165], v[4:5], v[164:165]                // 000000004964: D3B140A4 18034904
	v_pk_mul_f32 v[86:87], v[4:5], v[86:87]                    // 00000000496C: D3B14056 1802AD04
	v_pk_mul_f32 v[166:167], v[4:5], v[166:167]                // 000000004974: D3B140A6 18034D04
	v_pk_mul_f32 v[104:105], v[4:5], v[104:105]                // 00000000497C: D3B14068 1802D104
	v_pk_mul_f32 v[184:185], v[4:5], v[184:185]                // 000000004984: D3B140B8 18037104
	v_pk_mul_f32 v[106:107], v[4:5], v[106:107]                // 00000000498C: D3B1406A 1802D504
	v_pk_mul_f32 v[186:187], v[4:5], v[186:187]                // 000000004994: D3B140BA 18037504
	v_pk_mul_f32 v[124:125], v[4:5], v[124:125]                // 00000000499C: D3B1407C 1802F904
	v_pk_mul_f32 v[204:205], v[4:5], v[204:205]                // 0000000049A4: D3B140CC 18039904
	v_pk_mul_f32 v[126:127], v[4:5], v[126:127]                // 0000000049AC: D3B1407E 1802FD04
	v_pk_mul_f32 v[206:207], v[4:5], v[206:207]                // 0000000049B4: D3B140CE 18039D04
	v_mul_f32_e32 v34, v34, v225                               // 0000000049BC: 0A45C322
	v_mov_b32_e32 v4, v34                                      // 0000000049C0: 7E080322
	v_mov_b32_e32 v5, v4                                       // 0000000049C4: 7E0A0304
	v_pk_mul_f32 v[68:69], v[4:5], v[68:69]                    // 0000000049C8: D3B14044 18028904
	v_pk_mul_f32 v[148:149], v[4:5], v[148:149]                // 0000000049D0: D3B14094 18032904
	v_pk_mul_f32 v[70:71], v[4:5], v[70:71]                    // 0000000049D8: D3B14046 18028D04
	v_pk_mul_f32 v[150:151], v[4:5], v[150:151]                // 0000000049E0: D3B14096 18032D04
	v_pk_mul_f32 v[88:89], v[4:5], v[88:89]                    // 0000000049E8: D3B14058 1802B104
	v_pk_mul_f32 v[168:169], v[4:5], v[168:169]                // 0000000049F0: D3B140A8 18035104
	v_pk_mul_f32 v[90:91], v[4:5], v[90:91]                    // 0000000049F8: D3B1405A 1802B504
	v_pk_mul_f32 v[170:171], v[4:5], v[170:171]                // 000000004A00: D3B140AA 18035504
	v_pk_mul_f32 v[108:109], v[4:5], v[108:109]                // 000000004A08: D3B1406C 1802D904
	v_pk_mul_f32 v[188:189], v[4:5], v[188:189]                // 000000004A10: D3B140BC 18037904
	v_pk_mul_f32 v[110:111], v[4:5], v[110:111]                // 000000004A18: D3B1406E 1802DD04
	v_pk_mul_f32 v[190:191], v[4:5], v[190:191]                // 000000004A20: D3B140BE 18037D04
	v_pk_mul_f32 v[128:129], v[4:5], v[128:129]                // 000000004A28: D3B14080 18030104
	v_pk_mul_f32 v[208:209], v[4:5], v[208:209]                // 000000004A30: D3B140D0 1803A104
	v_pk_mul_f32 v[130:131], v[4:5], v[130:131]                // 000000004A38: D3B14082 18030504
	v_pk_mul_f32 v[210:211], v[4:5], v[210:211]                // 000000004A40: D3B140D2 1803A504
	v_mul_f32_e32 v35, v35, v226                               // 000000004A48: 0A47C523
	v_mov_b32_e32 v4, v35                                      // 000000004A4C: 7E080323
	v_mov_b32_e32 v5, v4                                       // 000000004A50: 7E0A0304
	v_pk_mul_f32 v[72:73], v[4:5], v[72:73]                    // 000000004A54: D3B14048 18029104
	v_pk_mul_f32 v[152:153], v[4:5], v[152:153]                // 000000004A5C: D3B14098 18033104
	v_pk_mul_f32 v[74:75], v[4:5], v[74:75]                    // 000000004A64: D3B1404A 18029504
	v_pk_mul_f32 v[154:155], v[4:5], v[154:155]                // 000000004A6C: D3B1409A 18033504
	v_pk_mul_f32 v[92:93], v[4:5], v[92:93]                    // 000000004A74: D3B1405C 1802B904
	v_pk_mul_f32 v[172:173], v[4:5], v[172:173]                // 000000004A7C: D3B140AC 18035904
	v_pk_mul_f32 v[94:95], v[4:5], v[94:95]                    // 000000004A84: D3B1405E 1802BD04
	v_pk_mul_f32 v[174:175], v[4:5], v[174:175]                // 000000004A8C: D3B140AE 18035D04
	v_pk_mul_f32 v[112:113], v[4:5], v[112:113]                // 000000004A94: D3B14070 1802E104
	v_pk_mul_f32 v[192:193], v[4:5], v[192:193]                // 000000004A9C: D3B140C0 18038104
	v_pk_mul_f32 v[114:115], v[4:5], v[114:115]                // 000000004AA4: D3B14072 1802E504
	v_pk_mul_f32 v[194:195], v[4:5], v[194:195]                // 000000004AAC: D3B140C2 18038504
	v_pk_mul_f32 v[132:133], v[4:5], v[132:133]                // 000000004AB4: D3B14084 18030904
	v_pk_mul_f32 v[212:213], v[4:5], v[212:213]                // 000000004ABC: D3B140D4 1803A904
	v_pk_mul_f32 v[134:135], v[4:5], v[134:135]                // 000000004AC4: D3B14086 18030D04
	v_pk_mul_f32 v[214:215], v[4:5], v[214:215]                // 000000004ACC: D3B140D6 1803AD04
	v_mul_f32_e32 v36, v36, v227                               // 000000004AD4: 0A49C724
	v_mov_b32_e32 v4, v36                                      // 000000004AD8: 7E080324
	v_mov_b32_e32 v5, v4                                       // 000000004ADC: 7E0A0304
	v_pk_mul_f32 v[76:77], v[4:5], v[76:77]                    // 000000004AE0: D3B1404C 18029904
	v_pk_mul_f32 v[156:157], v[4:5], v[156:157]                // 000000004AE8: D3B1409C 18033904
	v_pk_mul_f32 v[78:79], v[4:5], v[78:79]                    // 000000004AF0: D3B1404E 18029D04
	v_pk_mul_f32 v[158:159], v[4:5], v[158:159]                // 000000004AF8: D3B1409E 18033D04
	v_pk_mul_f32 v[96:97], v[4:5], v[96:97]                    // 000000004B00: D3B14060 1802C104
	v_pk_mul_f32 v[176:177], v[4:5], v[176:177]                // 000000004B08: D3B140B0 18036104
	v_pk_mul_f32 v[98:99], v[4:5], v[98:99]                    // 000000004B10: D3B14062 1802C504
	v_pk_mul_f32 v[178:179], v[4:5], v[178:179]                // 000000004B18: D3B140B2 18036504
	v_pk_mul_f32 v[116:117], v[4:5], v[116:117]                // 000000004B20: D3B14074 1802E904
	v_pk_mul_f32 v[196:197], v[4:5], v[196:197]                // 000000004B28: D3B140C4 18038904
	v_pk_mul_f32 v[118:119], v[4:5], v[118:119]                // 000000004B30: D3B14076 1802ED04
	v_pk_mul_f32 v[198:199], v[4:5], v[198:199]                // 000000004B38: D3B140C6 18038D04
	v_pk_mul_f32 v[136:137], v[4:5], v[136:137]                // 000000004B40: D3B14088 18031104
	v_pk_mul_f32 v[216:217], v[4:5], v[216:217]                // 000000004B48: D3B140D8 1803B104
	v_pk_mul_f32 v[138:139], v[4:5], v[138:139]                // 000000004B50: D3B1408A 18031504
	v_pk_mul_f32 v[218:219], v[4:5], v[218:219]                // 000000004B58: D3B140DA 1803B504
	v_mul_f32_e32 v37, v37, v228                               // 000000004B60: 0A4BC925
	v_mov_b32_e32 v4, v37                                      // 000000004B64: 7E080325
	v_mov_b32_e32 v5, v4                                       // 000000004B68: 7E0A0304
	v_pk_mul_f32 v[80:81], v[4:5], v[80:81]                    // 000000004B6C: D3B14050 1802A104
	v_pk_mul_f32 v[160:161], v[4:5], v[160:161]                // 000000004B74: D3B140A0 18034104
	v_pk_mul_f32 v[82:83], v[4:5], v[82:83]                    // 000000004B7C: D3B14052 1802A504
	v_pk_mul_f32 v[162:163], v[4:5], v[162:163]                // 000000004B84: D3B140A2 18034504
	v_pk_mul_f32 v[100:101], v[4:5], v[100:101]                // 000000004B8C: D3B14064 1802C904
	v_pk_mul_f32 v[180:181], v[4:5], v[180:181]                // 000000004B94: D3B140B4 18036904
	v_pk_mul_f32 v[102:103], v[4:5], v[102:103]                // 000000004B9C: D3B14066 1802CD04
	v_pk_mul_f32 v[182:183], v[4:5], v[182:183]                // 000000004BA4: D3B140B6 18036D04
	v_pk_mul_f32 v[120:121], v[4:5], v[120:121]                // 000000004BAC: D3B14078 1802F104
	v_pk_mul_f32 v[200:201], v[4:5], v[200:201]                // 000000004BB4: D3B140C8 18039104
	v_pk_mul_f32 v[122:123], v[4:5], v[122:123]                // 000000004BBC: D3B1407A 1802F504
	v_pk_mul_f32 v[202:203], v[4:5], v[202:203]                // 000000004BC4: D3B140CA 18039504
	v_pk_mul_f32 v[140:141], v[4:5], v[140:141]                // 000000004BCC: D3B1408C 18031904
	v_pk_mul_f32 v[220:221], v[4:5], v[220:221]                // 000000004BD4: D3B140DC 1803B904
	v_pk_mul_f32 v[142:143], v[4:5], v[142:143]                // 000000004BDC: D3B1408E 18031D04
	v_pk_mul_f32 v[222:223], v[4:5], v[222:223]                // 000000004BE4: D3B140DE 1803BD04
	s_cmp_eq_u32 s88, 0                                        // 000000004BEC: BF068058
	s_cbranch_scc0 label_12B2                                  // 000000004BF0: BF840A35
	s_cmp_eq_u32 s89, 0                                        // 000000004BF4: BF068059
	s_cbranch_scc1 label_0BA4                                  // 000000004BF8: BF850325
	v_mov_b32_e32 v8, v1                                       // 000000004BFC: 7E100301
	v_mov_b32_e32 v9, v1                                       // 000000004C00: 7E120301
	s_mov_b32 s60, s6                                          // 000000004C04: BEBC0006
	s_mov_b32 s61, s6                                          // 000000004C08: BEBD0006
	v_pk_mul_f32 v[4:5], v[64:65], v[64:65]                    // 000000004C0C: D3B14004 18028140
	v_pk_mul_f32 v[6:7], v[66:67], v[66:67]                    // 000000004C14: D3B14006 18028542
	v_pk_fma_f32 v[4:5], v[4:5], s[78:79], v[8:9]              // 000000004C1C: D3B04004 1C209D04
	v_pk_fma_f32 v[6:7], v[6:7], s[78:79], v[8:9]              // 000000004C24: D3B04006 1C209D06
	v_pk_mul_f32 v[4:5], v[4:5], v[64:65]                      // 000000004C2C: D3B14004 18028104
	v_pk_mul_f32 v[6:7], v[6:7], v[66:67]                      // 000000004C34: D3B14006 18028506
	v_pk_mul_f32 v[4:5], v[4:5], s[60:61]                      // 000000004C3C: D3B14004 18007904
	v_pk_mul_f32 v[6:7], v[6:7], s[60:61]                      // 000000004C44: D3B14006 18007906
	v_exp_f32_e32 v4, v4                                       // 000000004C4C: 7E084104
	v_exp_f32_e32 v5, v5                                       // 000000004C50: 7E0A4105
	v_exp_f32_e32 v6, v6                                       // 000000004C54: 7E0C4106
	v_exp_f32_e32 v7, v7                                       // 000000004C58: 7E0E4107
	v_add_f32_e64 v4, v4, 1.0                                  // 000000004C5C: D1010004 0001E504
	v_add_f32_e64 v5, v5, 1.0                                  // 000000004C64: D1010005 0001E505
	v_add_f32_e64 v6, v6, 1.0                                  // 000000004C6C: D1010006 0001E506
	v_add_f32_e64 v7, v7, 1.0                                  // 000000004C74: D1010007 0001E507
	v_rcp_f32_e32 v4, v4                                       // 000000004C7C: 7E084504
	v_rcp_f32_e32 v5, v5                                       // 000000004C80: 7E0A4505
	v_rcp_f32_e32 v6, v6                                       // 000000004C84: 7E0C4506
	v_rcp_f32_e32 v7, v7                                       // 000000004C88: 7E0E4507
	v_mul_f32_e32 v64, v64, v4                                 // 000000004C8C: 0A800940
	v_mul_f32_e32 v65, v65, v5                                 // 000000004C90: 0A820B41
	v_mul_f32_e32 v66, v66, v6                                 // 000000004C94: 0A840D42
	v_mul_f32_e32 v67, v67, v7                                 // 000000004C98: 0A860F43
	v_mul_f32_e32 v64, v64, v144                               // 000000004C9C: 0A812140
	v_mul_f32_e32 v65, v65, v145                               // 000000004CA0: 0A832341
	v_mul_f32_e32 v66, v66, v146                               // 000000004CA4: 0A852542
	v_mul_f32_e32 v67, v67, v147                               // 000000004CA8: 0A872743
	v_pk_mul_f32 v[4:5], v[68:69], v[68:69]                    // 000000004CAC: D3B14004 18028944
	v_pk_mul_f32 v[6:7], v[70:71], v[70:71]                    // 000000004CB4: D3B14006 18028D46
	v_pk_fma_f32 v[4:5], v[4:5], s[78:79], v[8:9]              // 000000004CBC: D3B04004 1C209D04
	v_pk_fma_f32 v[6:7], v[6:7], s[78:79], v[8:9]              // 000000004CC4: D3B04006 1C209D06
	v_pk_mul_f32 v[4:5], v[4:5], v[68:69]                      // 000000004CCC: D3B14004 18028904
	v_pk_mul_f32 v[6:7], v[6:7], v[70:71]                      // 000000004CD4: D3B14006 18028D06
	v_pk_mul_f32 v[4:5], v[4:5], s[60:61]                      // 000000004CDC: D3B14004 18007904
	v_pk_mul_f32 v[6:7], v[6:7], s[60:61]                      // 000000004CE4: D3B14006 18007906
	v_exp_f32_e32 v4, v4                                       // 000000004CEC: 7E084104
	v_exp_f32_e32 v5, v5                                       // 000000004CF0: 7E0A4105
	v_exp_f32_e32 v6, v6                                       // 000000004CF4: 7E0C4106
	v_exp_f32_e32 v7, v7                                       // 000000004CF8: 7E0E4107
	v_add_f32_e64 v4, v4, 1.0                                  // 000000004CFC: D1010004 0001E504
	v_add_f32_e64 v5, v5, 1.0                                  // 000000004D04: D1010005 0001E505
	v_add_f32_e64 v6, v6, 1.0                                  // 000000004D0C: D1010006 0001E506
	v_add_f32_e64 v7, v7, 1.0                                  // 000000004D14: D1010007 0001E507
	v_rcp_f32_e32 v4, v4                                       // 000000004D1C: 7E084504
	v_rcp_f32_e32 v5, v5                                       // 000000004D20: 7E0A4505
	v_rcp_f32_e32 v6, v6                                       // 000000004D24: 7E0C4506
	v_rcp_f32_e32 v7, v7                                       // 000000004D28: 7E0E4507
	v_mul_f32_e32 v68, v68, v4                                 // 000000004D2C: 0A880944
	v_mul_f32_e32 v69, v69, v5                                 // 000000004D30: 0A8A0B45
	v_mul_f32_e32 v70, v70, v6                                 // 000000004D34: 0A8C0D46
	v_mul_f32_e32 v71, v71, v7                                 // 000000004D38: 0A8E0F47
	v_mul_f32_e32 v68, v68, v148                               // 000000004D3C: 0A892944
	v_mul_f32_e32 v69, v69, v149                               // 000000004D40: 0A8B2B45
	v_mul_f32_e32 v70, v70, v150                               // 000000004D44: 0A8D2D46
	v_mul_f32_e32 v71, v71, v151                               // 000000004D48: 0A8F2F47
	v_pk_mul_f32 v[4:5], v[72:73], v[72:73]                    // 000000004D4C: D3B14004 18029148
	v_pk_mul_f32 v[6:7], v[74:75], v[74:75]                    // 000000004D54: D3B14006 1802954A
	v_pk_fma_f32 v[4:5], v[4:5], s[78:79], v[8:9]              // 000000004D5C: D3B04004 1C209D04
	v_pk_fma_f32 v[6:7], v[6:7], s[78:79], v[8:9]              // 000000004D64: D3B04006 1C209D06
	v_pk_mul_f32 v[4:5], v[4:5], v[72:73]                      // 000000004D6C: D3B14004 18029104
	v_pk_mul_f32 v[6:7], v[6:7], v[74:75]                      // 000000004D74: D3B14006 18029506
	v_pk_mul_f32 v[4:5], v[4:5], s[60:61]                      // 000000004D7C: D3B14004 18007904
	v_pk_mul_f32 v[6:7], v[6:7], s[60:61]                      // 000000004D84: D3B14006 18007906
	v_exp_f32_e32 v4, v4                                       // 000000004D8C: 7E084104
	v_exp_f32_e32 v5, v5                                       // 000000004D90: 7E0A4105
	v_exp_f32_e32 v6, v6                                       // 000000004D94: 7E0C4106
	v_exp_f32_e32 v7, v7                                       // 000000004D98: 7E0E4107
	v_add_f32_e64 v4, v4, 1.0                                  // 000000004D9C: D1010004 0001E504
	v_add_f32_e64 v5, v5, 1.0                                  // 000000004DA4: D1010005 0001E505
	v_add_f32_e64 v6, v6, 1.0                                  // 000000004DAC: D1010006 0001E506
	v_add_f32_e64 v7, v7, 1.0                                  // 000000004DB4: D1010007 0001E507
	v_rcp_f32_e32 v4, v4                                       // 000000004DBC: 7E084504
	v_rcp_f32_e32 v5, v5                                       // 000000004DC0: 7E0A4505
	v_rcp_f32_e32 v6, v6                                       // 000000004DC4: 7E0C4506
	v_rcp_f32_e32 v7, v7                                       // 000000004DC8: 7E0E4507
	v_mul_f32_e32 v72, v72, v4                                 // 000000004DCC: 0A900948
	v_mul_f32_e32 v73, v73, v5                                 // 000000004DD0: 0A920B49
	v_mul_f32_e32 v74, v74, v6                                 // 000000004DD4: 0A940D4A
	v_mul_f32_e32 v75, v75, v7                                 // 000000004DD8: 0A960F4B
	v_mul_f32_e32 v72, v72, v152                               // 000000004DDC: 0A913148
	v_mul_f32_e32 v73, v73, v153                               // 000000004DE0: 0A933349
	v_mul_f32_e32 v74, v74, v154                               // 000000004DE4: 0A95354A
	v_mul_f32_e32 v75, v75, v155                               // 000000004DE8: 0A97374B
	v_pk_mul_f32 v[4:5], v[76:77], v[76:77]                    // 000000004DEC: D3B14004 1802994C
	v_pk_mul_f32 v[6:7], v[78:79], v[78:79]                    // 000000004DF4: D3B14006 18029D4E
	v_pk_fma_f32 v[4:5], v[4:5], s[78:79], v[8:9]              // 000000004DFC: D3B04004 1C209D04
	v_pk_fma_f32 v[6:7], v[6:7], s[78:79], v[8:9]              // 000000004E04: D3B04006 1C209D06
	v_pk_mul_f32 v[4:5], v[4:5], v[76:77]                      // 000000004E0C: D3B14004 18029904
	v_pk_mul_f32 v[6:7], v[6:7], v[78:79]                      // 000000004E14: D3B14006 18029D06
	v_pk_mul_f32 v[4:5], v[4:5], s[60:61]                      // 000000004E1C: D3B14004 18007904
	v_pk_mul_f32 v[6:7], v[6:7], s[60:61]                      // 000000004E24: D3B14006 18007906
	v_exp_f32_e32 v4, v4                                       // 000000004E2C: 7E084104
	v_exp_f32_e32 v5, v5                                       // 000000004E30: 7E0A4105
	v_exp_f32_e32 v6, v6                                       // 000000004E34: 7E0C4106
	v_exp_f32_e32 v7, v7                                       // 000000004E38: 7E0E4107
	v_add_f32_e64 v4, v4, 1.0                                  // 000000004E3C: D1010004 0001E504
	v_add_f32_e64 v5, v5, 1.0                                  // 000000004E44: D1010005 0001E505
	v_add_f32_e64 v6, v6, 1.0                                  // 000000004E4C: D1010006 0001E506
	v_add_f32_e64 v7, v7, 1.0                                  // 000000004E54: D1010007 0001E507
	v_rcp_f32_e32 v4, v4                                       // 000000004E5C: 7E084504
	v_rcp_f32_e32 v5, v5                                       // 000000004E60: 7E0A4505
	v_rcp_f32_e32 v6, v6                                       // 000000004E64: 7E0C4506
	v_rcp_f32_e32 v7, v7                                       // 000000004E68: 7E0E4507
	v_mul_f32_e32 v76, v76, v4                                 // 000000004E6C: 0A98094C
	v_mul_f32_e32 v77, v77, v5                                 // 000000004E70: 0A9A0B4D
	v_mul_f32_e32 v78, v78, v6                                 // 000000004E74: 0A9C0D4E
	v_mul_f32_e32 v79, v79, v7                                 // 000000004E78: 0A9E0F4F
	v_mul_f32_e32 v76, v76, v156                               // 000000004E7C: 0A99394C
	v_mul_f32_e32 v77, v77, v157                               // 000000004E80: 0A9B3B4D
	v_mul_f32_e32 v78, v78, v158                               // 000000004E84: 0A9D3D4E
	v_mul_f32_e32 v79, v79, v159                               // 000000004E88: 0A9F3F4F
	v_pk_mul_f32 v[4:5], v[80:81], v[80:81]                    // 000000004E8C: D3B14004 1802A150
	v_pk_mul_f32 v[6:7], v[82:83], v[82:83]                    // 000000004E94: D3B14006 1802A552
	v_pk_fma_f32 v[4:5], v[4:5], s[78:79], v[8:9]              // 000000004E9C: D3B04004 1C209D04
	v_pk_fma_f32 v[6:7], v[6:7], s[78:79], v[8:9]              // 000000004EA4: D3B04006 1C209D06
	v_pk_mul_f32 v[4:5], v[4:5], v[80:81]                      // 000000004EAC: D3B14004 1802A104
	v_pk_mul_f32 v[6:7], v[6:7], v[82:83]                      // 000000004EB4: D3B14006 1802A506
	v_pk_mul_f32 v[4:5], v[4:5], s[60:61]                      // 000000004EBC: D3B14004 18007904
	v_pk_mul_f32 v[6:7], v[6:7], s[60:61]                      // 000000004EC4: D3B14006 18007906
	v_exp_f32_e32 v4, v4                                       // 000000004ECC: 7E084104
	v_exp_f32_e32 v5, v5                                       // 000000004ED0: 7E0A4105
	v_exp_f32_e32 v6, v6                                       // 000000004ED4: 7E0C4106
	v_exp_f32_e32 v7, v7                                       // 000000004ED8: 7E0E4107
	v_add_f32_e64 v4, v4, 1.0                                  // 000000004EDC: D1010004 0001E504
	v_add_f32_e64 v5, v5, 1.0                                  // 000000004EE4: D1010005 0001E505
	v_add_f32_e64 v6, v6, 1.0                                  // 000000004EEC: D1010006 0001E506
	v_add_f32_e64 v7, v7, 1.0                                  // 000000004EF4: D1010007 0001E507
	v_rcp_f32_e32 v4, v4                                       // 000000004EFC: 7E084504
	v_rcp_f32_e32 v5, v5                                       // 000000004F00: 7E0A4505
	v_rcp_f32_e32 v6, v6                                       // 000000004F04: 7E0C4506
	v_rcp_f32_e32 v7, v7                                       // 000000004F08: 7E0E4507
	v_mul_f32_e32 v80, v80, v4                                 // 000000004F0C: 0AA00950
	v_mul_f32_e32 v81, v81, v5                                 // 000000004F10: 0AA20B51
	v_mul_f32_e32 v82, v82, v6                                 // 000000004F14: 0AA40D52
	v_mul_f32_e32 v83, v83, v7                                 // 000000004F18: 0AA60F53
	v_mul_f32_e32 v80, v80, v160                               // 000000004F1C: 0AA14150
	v_mul_f32_e32 v81, v81, v161                               // 000000004F20: 0AA34351
	v_mul_f32_e32 v82, v82, v162                               // 000000004F24: 0AA54552
	v_mul_f32_e32 v83, v83, v163                               // 000000004F28: 0AA74753
	v_pk_mul_f32 v[4:5], v[84:85], v[84:85]                    // 000000004F2C: D3B14004 1802A954
	v_pk_mul_f32 v[6:7], v[86:87], v[86:87]                    // 000000004F34: D3B14006 1802AD56
	v_pk_fma_f32 v[4:5], v[4:5], s[78:79], v[8:9]              // 000000004F3C: D3B04004 1C209D04
	v_pk_fma_f32 v[6:7], v[6:7], s[78:79], v[8:9]              // 000000004F44: D3B04006 1C209D06
	v_pk_mul_f32 v[4:5], v[4:5], v[84:85]                      // 000000004F4C: D3B14004 1802A904
	v_pk_mul_f32 v[6:7], v[6:7], v[86:87]                      // 000000004F54: D3B14006 1802AD06
	v_pk_mul_f32 v[4:5], v[4:5], s[60:61]                      // 000000004F5C: D3B14004 18007904
	v_pk_mul_f32 v[6:7], v[6:7], s[60:61]                      // 000000004F64: D3B14006 18007906
	v_exp_f32_e32 v4, v4                                       // 000000004F6C: 7E084104
	v_exp_f32_e32 v5, v5                                       // 000000004F70: 7E0A4105
	v_exp_f32_e32 v6, v6                                       // 000000004F74: 7E0C4106
	v_exp_f32_e32 v7, v7                                       // 000000004F78: 7E0E4107
	v_add_f32_e64 v4, v4, 1.0                                  // 000000004F7C: D1010004 0001E504
	v_add_f32_e64 v5, v5, 1.0                                  // 000000004F84: D1010005 0001E505
	v_add_f32_e64 v6, v6, 1.0                                  // 000000004F8C: D1010006 0001E506
	v_add_f32_e64 v7, v7, 1.0                                  // 000000004F94: D1010007 0001E507
	v_rcp_f32_e32 v4, v4                                       // 000000004F9C: 7E084504
	v_rcp_f32_e32 v5, v5                                       // 000000004FA0: 7E0A4505
	v_rcp_f32_e32 v6, v6                                       // 000000004FA4: 7E0C4506
	v_rcp_f32_e32 v7, v7                                       // 000000004FA8: 7E0E4507
	v_mul_f32_e32 v84, v84, v4                                 // 000000004FAC: 0AA80954
	v_mul_f32_e32 v85, v85, v5                                 // 000000004FB0: 0AAA0B55
	v_mul_f32_e32 v86, v86, v6                                 // 000000004FB4: 0AAC0D56
	v_mul_f32_e32 v87, v87, v7                                 // 000000004FB8: 0AAE0F57
	v_mul_f32_e32 v84, v84, v164                               // 000000004FBC: 0AA94954
	v_mul_f32_e32 v85, v85, v165                               // 000000004FC0: 0AAB4B55
	v_mul_f32_e32 v86, v86, v166                               // 000000004FC4: 0AAD4D56
	v_mul_f32_e32 v87, v87, v167                               // 000000004FC8: 0AAF4F57
	v_pk_mul_f32 v[4:5], v[88:89], v[88:89]                    // 000000004FCC: D3B14004 1802B158
	v_pk_mul_f32 v[6:7], v[90:91], v[90:91]                    // 000000004FD4: D3B14006 1802B55A
	v_pk_fma_f32 v[4:5], v[4:5], s[78:79], v[8:9]              // 000000004FDC: D3B04004 1C209D04
	v_pk_fma_f32 v[6:7], v[6:7], s[78:79], v[8:9]              // 000000004FE4: D3B04006 1C209D06
	v_pk_mul_f32 v[4:5], v[4:5], v[88:89]                      // 000000004FEC: D3B14004 1802B104
	v_pk_mul_f32 v[6:7], v[6:7], v[90:91]                      // 000000004FF4: D3B14006 1802B506
	v_pk_mul_f32 v[4:5], v[4:5], s[60:61]                      // 000000004FFC: D3B14004 18007904
	v_pk_mul_f32 v[6:7], v[6:7], s[60:61]                      // 000000005004: D3B14006 18007906
	v_exp_f32_e32 v4, v4                                       // 00000000500C: 7E084104
	v_exp_f32_e32 v5, v5                                       // 000000005010: 7E0A4105
	v_exp_f32_e32 v6, v6                                       // 000000005014: 7E0C4106
	v_exp_f32_e32 v7, v7                                       // 000000005018: 7E0E4107
	v_add_f32_e64 v4, v4, 1.0                                  // 00000000501C: D1010004 0001E504
	v_add_f32_e64 v5, v5, 1.0                                  // 000000005024: D1010005 0001E505
	v_add_f32_e64 v6, v6, 1.0                                  // 00000000502C: D1010006 0001E506
	v_add_f32_e64 v7, v7, 1.0                                  // 000000005034: D1010007 0001E507
	v_rcp_f32_e32 v4, v4                                       // 00000000503C: 7E084504
	v_rcp_f32_e32 v5, v5                                       // 000000005040: 7E0A4505
	v_rcp_f32_e32 v6, v6                                       // 000000005044: 7E0C4506
	v_rcp_f32_e32 v7, v7                                       // 000000005048: 7E0E4507
	v_mul_f32_e32 v88, v88, v4                                 // 00000000504C: 0AB00958
	v_mul_f32_e32 v89, v89, v5                                 // 000000005050: 0AB20B59
	v_mul_f32_e32 v90, v90, v6                                 // 000000005054: 0AB40D5A
	v_mul_f32_e32 v91, v91, v7                                 // 000000005058: 0AB60F5B
	v_mul_f32_e32 v88, v88, v168                               // 00000000505C: 0AB15158
	v_mul_f32_e32 v89, v89, v169                               // 000000005060: 0AB35359
	v_mul_f32_e32 v90, v90, v170                               // 000000005064: 0AB5555A
	v_mul_f32_e32 v91, v91, v171                               // 000000005068: 0AB7575B
	v_pk_mul_f32 v[4:5], v[92:93], v[92:93]                    // 00000000506C: D3B14004 1802B95C
	v_pk_mul_f32 v[6:7], v[94:95], v[94:95]                    // 000000005074: D3B14006 1802BD5E
	v_pk_fma_f32 v[4:5], v[4:5], s[78:79], v[8:9]              // 00000000507C: D3B04004 1C209D04
	v_pk_fma_f32 v[6:7], v[6:7], s[78:79], v[8:9]              // 000000005084: D3B04006 1C209D06
	v_pk_mul_f32 v[4:5], v[4:5], v[92:93]                      // 00000000508C: D3B14004 1802B904
	v_pk_mul_f32 v[6:7], v[6:7], v[94:95]                      // 000000005094: D3B14006 1802BD06
	v_pk_mul_f32 v[4:5], v[4:5], s[60:61]                      // 00000000509C: D3B14004 18007904
	v_pk_mul_f32 v[6:7], v[6:7], s[60:61]                      // 0000000050A4: D3B14006 18007906
	v_exp_f32_e32 v4, v4                                       // 0000000050AC: 7E084104
	v_exp_f32_e32 v5, v5                                       // 0000000050B0: 7E0A4105
	v_exp_f32_e32 v6, v6                                       // 0000000050B4: 7E0C4106
	v_exp_f32_e32 v7, v7                                       // 0000000050B8: 7E0E4107
	v_add_f32_e64 v4, v4, 1.0                                  // 0000000050BC: D1010004 0001E504
	v_add_f32_e64 v5, v5, 1.0                                  // 0000000050C4: D1010005 0001E505
	v_add_f32_e64 v6, v6, 1.0                                  // 0000000050CC: D1010006 0001E506
	v_add_f32_e64 v7, v7, 1.0                                  // 0000000050D4: D1010007 0001E507
	v_rcp_f32_e32 v4, v4                                       // 0000000050DC: 7E084504
	v_rcp_f32_e32 v5, v5                                       // 0000000050E0: 7E0A4505
	v_rcp_f32_e32 v6, v6                                       // 0000000050E4: 7E0C4506
	v_rcp_f32_e32 v7, v7                                       // 0000000050E8: 7E0E4507
	v_mul_f32_e32 v92, v92, v4                                 // 0000000050EC: 0AB8095C
	v_mul_f32_e32 v93, v93, v5                                 // 0000000050F0: 0ABA0B5D
	v_mul_f32_e32 v94, v94, v6                                 // 0000000050F4: 0ABC0D5E
	v_mul_f32_e32 v95, v95, v7                                 // 0000000050F8: 0ABE0F5F
	v_mul_f32_e32 v92, v92, v172                               // 0000000050FC: 0AB9595C
	v_mul_f32_e32 v93, v93, v173                               // 000000005100: 0ABB5B5D
	v_mul_f32_e32 v94, v94, v174                               // 000000005104: 0ABD5D5E
	v_mul_f32_e32 v95, v95, v175                               // 000000005108: 0ABF5F5F
	v_pk_mul_f32 v[4:5], v[96:97], v[96:97]                    // 00000000510C: D3B14004 1802C160
	v_pk_mul_f32 v[6:7], v[98:99], v[98:99]                    // 000000005114: D3B14006 1802C562
	v_pk_fma_f32 v[4:5], v[4:5], s[78:79], v[8:9]              // 00000000511C: D3B04004 1C209D04
	v_pk_fma_f32 v[6:7], v[6:7], s[78:79], v[8:9]              // 000000005124: D3B04006 1C209D06
	v_pk_mul_f32 v[4:5], v[4:5], v[96:97]                      // 00000000512C: D3B14004 1802C104
	v_pk_mul_f32 v[6:7], v[6:7], v[98:99]                      // 000000005134: D3B14006 1802C506
	v_pk_mul_f32 v[4:5], v[4:5], s[60:61]                      // 00000000513C: D3B14004 18007904
	v_pk_mul_f32 v[6:7], v[6:7], s[60:61]                      // 000000005144: D3B14006 18007906
	v_exp_f32_e32 v4, v4                                       // 00000000514C: 7E084104
	v_exp_f32_e32 v5, v5                                       // 000000005150: 7E0A4105
	v_exp_f32_e32 v6, v6                                       // 000000005154: 7E0C4106
	v_exp_f32_e32 v7, v7                                       // 000000005158: 7E0E4107
	v_add_f32_e64 v4, v4, 1.0                                  // 00000000515C: D1010004 0001E504
	v_add_f32_e64 v5, v5, 1.0                                  // 000000005164: D1010005 0001E505
	v_add_f32_e64 v6, v6, 1.0                                  // 00000000516C: D1010006 0001E506
	v_add_f32_e64 v7, v7, 1.0                                  // 000000005174: D1010007 0001E507
	v_rcp_f32_e32 v4, v4                                       // 00000000517C: 7E084504
	v_rcp_f32_e32 v5, v5                                       // 000000005180: 7E0A4505
	v_rcp_f32_e32 v6, v6                                       // 000000005184: 7E0C4506
	v_rcp_f32_e32 v7, v7                                       // 000000005188: 7E0E4507
	v_mul_f32_e32 v96, v96, v4                                 // 00000000518C: 0AC00960
	v_mul_f32_e32 v97, v97, v5                                 // 000000005190: 0AC20B61
	v_mul_f32_e32 v98, v98, v6                                 // 000000005194: 0AC40D62
	v_mul_f32_e32 v99, v99, v7                                 // 000000005198: 0AC60F63
	v_mul_f32_e32 v96, v96, v176                               // 00000000519C: 0AC16160
	v_mul_f32_e32 v97, v97, v177                               // 0000000051A0: 0AC36361
	v_mul_f32_e32 v98, v98, v178                               // 0000000051A4: 0AC56562
	v_mul_f32_e32 v99, v99, v179                               // 0000000051A8: 0AC76763
	v_pk_mul_f32 v[4:5], v[100:101], v[100:101]                // 0000000051AC: D3B14004 1802C964
	v_pk_mul_f32 v[6:7], v[102:103], v[102:103]                // 0000000051B4: D3B14006 1802CD66
	v_pk_fma_f32 v[4:5], v[4:5], s[78:79], v[8:9]              // 0000000051BC: D3B04004 1C209D04
	v_pk_fma_f32 v[6:7], v[6:7], s[78:79], v[8:9]              // 0000000051C4: D3B04006 1C209D06
	v_pk_mul_f32 v[4:5], v[4:5], v[100:101]                    // 0000000051CC: D3B14004 1802C904
	v_pk_mul_f32 v[6:7], v[6:7], v[102:103]                    // 0000000051D4: D3B14006 1802CD06
	v_pk_mul_f32 v[4:5], v[4:5], s[60:61]                      // 0000000051DC: D3B14004 18007904
	v_pk_mul_f32 v[6:7], v[6:7], s[60:61]                      // 0000000051E4: D3B14006 18007906
	v_exp_f32_e32 v4, v4                                       // 0000000051EC: 7E084104
	v_exp_f32_e32 v5, v5                                       // 0000000051F0: 7E0A4105
	v_exp_f32_e32 v6, v6                                       // 0000000051F4: 7E0C4106
	v_exp_f32_e32 v7, v7                                       // 0000000051F8: 7E0E4107
	v_add_f32_e64 v4, v4, 1.0                                  // 0000000051FC: D1010004 0001E504
	v_add_f32_e64 v5, v5, 1.0                                  // 000000005204: D1010005 0001E505
	v_add_f32_e64 v6, v6, 1.0                                  // 00000000520C: D1010006 0001E506
	v_add_f32_e64 v7, v7, 1.0                                  // 000000005214: D1010007 0001E507
	v_rcp_f32_e32 v4, v4                                       // 00000000521C: 7E084504
	v_rcp_f32_e32 v5, v5                                       // 000000005220: 7E0A4505
	v_rcp_f32_e32 v6, v6                                       // 000000005224: 7E0C4506
	v_rcp_f32_e32 v7, v7                                       // 000000005228: 7E0E4507
	v_mul_f32_e32 v100, v100, v4                               // 00000000522C: 0AC80964
	v_mul_f32_e32 v101, v101, v5                               // 000000005230: 0ACA0B65
	v_mul_f32_e32 v102, v102, v6                               // 000000005234: 0ACC0D66
	v_mul_f32_e32 v103, v103, v7                               // 000000005238: 0ACE0F67
	v_mul_f32_e32 v100, v100, v180                             // 00000000523C: 0AC96964
	v_mul_f32_e32 v101, v101, v181                             // 000000005240: 0ACB6B65
	v_mul_f32_e32 v102, v102, v182                             // 000000005244: 0ACD6D66
	v_mul_f32_e32 v103, v103, v183                             // 000000005248: 0ACF6F67
	v_pk_mul_f32 v[4:5], v[104:105], v[104:105]                // 00000000524C: D3B14004 1802D168
	v_pk_mul_f32 v[6:7], v[106:107], v[106:107]                // 000000005254: D3B14006 1802D56A
	v_pk_fma_f32 v[4:5], v[4:5], s[78:79], v[8:9]              // 00000000525C: D3B04004 1C209D04
	v_pk_fma_f32 v[6:7], v[6:7], s[78:79], v[8:9]              // 000000005264: D3B04006 1C209D06
	v_pk_mul_f32 v[4:5], v[4:5], v[104:105]                    // 00000000526C: D3B14004 1802D104
	v_pk_mul_f32 v[6:7], v[6:7], v[106:107]                    // 000000005274: D3B14006 1802D506
	v_pk_mul_f32 v[4:5], v[4:5], s[60:61]                      // 00000000527C: D3B14004 18007904
	v_pk_mul_f32 v[6:7], v[6:7], s[60:61]                      // 000000005284: D3B14006 18007906
	v_exp_f32_e32 v4, v4                                       // 00000000528C: 7E084104
	v_exp_f32_e32 v5, v5                                       // 000000005290: 7E0A4105
	v_exp_f32_e32 v6, v6                                       // 000000005294: 7E0C4106
	v_exp_f32_e32 v7, v7                                       // 000000005298: 7E0E4107
	v_add_f32_e64 v4, v4, 1.0                                  // 00000000529C: D1010004 0001E504
	v_add_f32_e64 v5, v5, 1.0                                  // 0000000052A4: D1010005 0001E505
	v_add_f32_e64 v6, v6, 1.0                                  // 0000000052AC: D1010006 0001E506
	v_add_f32_e64 v7, v7, 1.0                                  // 0000000052B4: D1010007 0001E507
	v_rcp_f32_e32 v4, v4                                       // 0000000052BC: 7E084504
	v_rcp_f32_e32 v5, v5                                       // 0000000052C0: 7E0A4505
	v_rcp_f32_e32 v6, v6                                       // 0000000052C4: 7E0C4506
	v_rcp_f32_e32 v7, v7                                       // 0000000052C8: 7E0E4507
	v_mul_f32_e32 v104, v104, v4                               // 0000000052CC: 0AD00968
	v_mul_f32_e32 v105, v105, v5                               // 0000000052D0: 0AD20B69
	v_mul_f32_e32 v106, v106, v6                               // 0000000052D4: 0AD40D6A
	v_mul_f32_e32 v107, v107, v7                               // 0000000052D8: 0AD60F6B
	v_mul_f32_e32 v104, v104, v184                             // 0000000052DC: 0AD17168
	v_mul_f32_e32 v105, v105, v185                             // 0000000052E0: 0AD37369
	v_mul_f32_e32 v106, v106, v186                             // 0000000052E4: 0AD5756A
	v_mul_f32_e32 v107, v107, v187                             // 0000000052E8: 0AD7776B
	v_pk_mul_f32 v[4:5], v[108:109], v[108:109]                // 0000000052EC: D3B14004 1802D96C
	v_pk_mul_f32 v[6:7], v[110:111], v[110:111]                // 0000000052F4: D3B14006 1802DD6E
	v_pk_fma_f32 v[4:5], v[4:5], s[78:79], v[8:9]              // 0000000052FC: D3B04004 1C209D04
	v_pk_fma_f32 v[6:7], v[6:7], s[78:79], v[8:9]              // 000000005304: D3B04006 1C209D06
	v_pk_mul_f32 v[4:5], v[4:5], v[108:109]                    // 00000000530C: D3B14004 1802D904
	v_pk_mul_f32 v[6:7], v[6:7], v[110:111]                    // 000000005314: D3B14006 1802DD06
	v_pk_mul_f32 v[4:5], v[4:5], s[60:61]                      // 00000000531C: D3B14004 18007904
	v_pk_mul_f32 v[6:7], v[6:7], s[60:61]                      // 000000005324: D3B14006 18007906
	v_exp_f32_e32 v4, v4                                       // 00000000532C: 7E084104
	v_exp_f32_e32 v5, v5                                       // 000000005330: 7E0A4105
	v_exp_f32_e32 v6, v6                                       // 000000005334: 7E0C4106
	v_exp_f32_e32 v7, v7                                       // 000000005338: 7E0E4107
	v_add_f32_e64 v4, v4, 1.0                                  // 00000000533C: D1010004 0001E504
	v_add_f32_e64 v5, v5, 1.0                                  // 000000005344: D1010005 0001E505
	v_add_f32_e64 v6, v6, 1.0                                  // 00000000534C: D1010006 0001E506
	v_add_f32_e64 v7, v7, 1.0                                  // 000000005354: D1010007 0001E507
	v_rcp_f32_e32 v4, v4                                       // 00000000535C: 7E084504
	v_rcp_f32_e32 v5, v5                                       // 000000005360: 7E0A4505
	v_rcp_f32_e32 v6, v6                                       // 000000005364: 7E0C4506
	v_rcp_f32_e32 v7, v7                                       // 000000005368: 7E0E4507
	v_mul_f32_e32 v108, v108, v4                               // 00000000536C: 0AD8096C
	v_mul_f32_e32 v109, v109, v5                               // 000000005370: 0ADA0B6D
	v_mul_f32_e32 v110, v110, v6                               // 000000005374: 0ADC0D6E
	v_mul_f32_e32 v111, v111, v7                               // 000000005378: 0ADE0F6F
	v_mul_f32_e32 v108, v108, v188                             // 00000000537C: 0AD9796C
	v_mul_f32_e32 v109, v109, v189                             // 000000005380: 0ADB7B6D
	v_mul_f32_e32 v110, v110, v190                             // 000000005384: 0ADD7D6E
	v_mul_f32_e32 v111, v111, v191                             // 000000005388: 0ADF7F6F
	v_pk_mul_f32 v[4:5], v[112:113], v[112:113]                // 00000000538C: D3B14004 1802E170
	v_pk_mul_f32 v[6:7], v[114:115], v[114:115]                // 000000005394: D3B14006 1802E572
	v_pk_fma_f32 v[4:5], v[4:5], s[78:79], v[8:9]              // 00000000539C: D3B04004 1C209D04
	v_pk_fma_f32 v[6:7], v[6:7], s[78:79], v[8:9]              // 0000000053A4: D3B04006 1C209D06
	v_pk_mul_f32 v[4:5], v[4:5], v[112:113]                    // 0000000053AC: D3B14004 1802E104
	v_pk_mul_f32 v[6:7], v[6:7], v[114:115]                    // 0000000053B4: D3B14006 1802E506
	v_pk_mul_f32 v[4:5], v[4:5], s[60:61]                      // 0000000053BC: D3B14004 18007904
	v_pk_mul_f32 v[6:7], v[6:7], s[60:61]                      // 0000000053C4: D3B14006 18007906
	v_exp_f32_e32 v4, v4                                       // 0000000053CC: 7E084104
	v_exp_f32_e32 v5, v5                                       // 0000000053D0: 7E0A4105
	v_exp_f32_e32 v6, v6                                       // 0000000053D4: 7E0C4106
	v_exp_f32_e32 v7, v7                                       // 0000000053D8: 7E0E4107
	v_add_f32_e64 v4, v4, 1.0                                  // 0000000053DC: D1010004 0001E504
	v_add_f32_e64 v5, v5, 1.0                                  // 0000000053E4: D1010005 0001E505
	v_add_f32_e64 v6, v6, 1.0                                  // 0000000053EC: D1010006 0001E506
	v_add_f32_e64 v7, v7, 1.0                                  // 0000000053F4: D1010007 0001E507
	v_rcp_f32_e32 v4, v4                                       // 0000000053FC: 7E084504
	v_rcp_f32_e32 v5, v5                                       // 000000005400: 7E0A4505
	v_rcp_f32_e32 v6, v6                                       // 000000005404: 7E0C4506
	v_rcp_f32_e32 v7, v7                                       // 000000005408: 7E0E4507
	v_mul_f32_e32 v112, v112, v4                               // 00000000540C: 0AE00970
	v_mul_f32_e32 v113, v113, v5                               // 000000005410: 0AE20B71
	v_mul_f32_e32 v114, v114, v6                               // 000000005414: 0AE40D72
	v_mul_f32_e32 v115, v115, v7                               // 000000005418: 0AE60F73
	v_mul_f32_e32 v112, v112, v192                             // 00000000541C: 0AE18170
	v_mul_f32_e32 v113, v113, v193                             // 000000005420: 0AE38371
	v_mul_f32_e32 v114, v114, v194                             // 000000005424: 0AE58572
	v_mul_f32_e32 v115, v115, v195                             // 000000005428: 0AE78773
	v_pk_mul_f32 v[4:5], v[116:117], v[116:117]                // 00000000542C: D3B14004 1802E974
	v_pk_mul_f32 v[6:7], v[118:119], v[118:119]                // 000000005434: D3B14006 1802ED76
	v_pk_fma_f32 v[4:5], v[4:5], s[78:79], v[8:9]              // 00000000543C: D3B04004 1C209D04
	v_pk_fma_f32 v[6:7], v[6:7], s[78:79], v[8:9]              // 000000005444: D3B04006 1C209D06
	v_pk_mul_f32 v[4:5], v[4:5], v[116:117]                    // 00000000544C: D3B14004 1802E904
	v_pk_mul_f32 v[6:7], v[6:7], v[118:119]                    // 000000005454: D3B14006 1802ED06
	v_pk_mul_f32 v[4:5], v[4:5], s[60:61]                      // 00000000545C: D3B14004 18007904
	v_pk_mul_f32 v[6:7], v[6:7], s[60:61]                      // 000000005464: D3B14006 18007906
	v_exp_f32_e32 v4, v4                                       // 00000000546C: 7E084104
	v_exp_f32_e32 v5, v5                                       // 000000005470: 7E0A4105
	v_exp_f32_e32 v6, v6                                       // 000000005474: 7E0C4106
	v_exp_f32_e32 v7, v7                                       // 000000005478: 7E0E4107
	v_add_f32_e64 v4, v4, 1.0                                  // 00000000547C: D1010004 0001E504
	v_add_f32_e64 v5, v5, 1.0                                  // 000000005484: D1010005 0001E505
	v_add_f32_e64 v6, v6, 1.0                                  // 00000000548C: D1010006 0001E506
	v_add_f32_e64 v7, v7, 1.0                                  // 000000005494: D1010007 0001E507
	v_rcp_f32_e32 v4, v4                                       // 00000000549C: 7E084504
	v_rcp_f32_e32 v5, v5                                       // 0000000054A0: 7E0A4505
	v_rcp_f32_e32 v6, v6                                       // 0000000054A4: 7E0C4506
	v_rcp_f32_e32 v7, v7                                       // 0000000054A8: 7E0E4507
	v_mul_f32_e32 v116, v116, v4                               // 0000000054AC: 0AE80974
	v_mul_f32_e32 v117, v117, v5                               // 0000000054B0: 0AEA0B75
	v_mul_f32_e32 v118, v118, v6                               // 0000000054B4: 0AEC0D76
	v_mul_f32_e32 v119, v119, v7                               // 0000000054B8: 0AEE0F77
	v_mul_f32_e32 v116, v116, v196                             // 0000000054BC: 0AE98974
	v_mul_f32_e32 v117, v117, v197                             // 0000000054C0: 0AEB8B75
	v_mul_f32_e32 v118, v118, v198                             // 0000000054C4: 0AED8D76
	v_mul_f32_e32 v119, v119, v199                             // 0000000054C8: 0AEF8F77
	v_pk_mul_f32 v[4:5], v[120:121], v[120:121]                // 0000000054CC: D3B14004 1802F178
	v_pk_mul_f32 v[6:7], v[122:123], v[122:123]                // 0000000054D4: D3B14006 1802F57A
	v_pk_fma_f32 v[4:5], v[4:5], s[78:79], v[8:9]              // 0000000054DC: D3B04004 1C209D04
	v_pk_fma_f32 v[6:7], v[6:7], s[78:79], v[8:9]              // 0000000054E4: D3B04006 1C209D06
	v_pk_mul_f32 v[4:5], v[4:5], v[120:121]                    // 0000000054EC: D3B14004 1802F104
	v_pk_mul_f32 v[6:7], v[6:7], v[122:123]                    // 0000000054F4: D3B14006 1802F506
	v_pk_mul_f32 v[4:5], v[4:5], s[60:61]                      // 0000000054FC: D3B14004 18007904
	v_pk_mul_f32 v[6:7], v[6:7], s[60:61]                      // 000000005504: D3B14006 18007906
	v_exp_f32_e32 v4, v4                                       // 00000000550C: 7E084104
	v_exp_f32_e32 v5, v5                                       // 000000005510: 7E0A4105
	v_exp_f32_e32 v6, v6                                       // 000000005514: 7E0C4106
	v_exp_f32_e32 v7, v7                                       // 000000005518: 7E0E4107
	v_add_f32_e64 v4, v4, 1.0                                  // 00000000551C: D1010004 0001E504
	v_add_f32_e64 v5, v5, 1.0                                  // 000000005524: D1010005 0001E505
	v_add_f32_e64 v6, v6, 1.0                                  // 00000000552C: D1010006 0001E506
	v_add_f32_e64 v7, v7, 1.0                                  // 000000005534: D1010007 0001E507
	v_rcp_f32_e32 v4, v4                                       // 00000000553C: 7E084504
	v_rcp_f32_e32 v5, v5                                       // 000000005540: 7E0A4505
	v_rcp_f32_e32 v6, v6                                       // 000000005544: 7E0C4506
	v_rcp_f32_e32 v7, v7                                       // 000000005548: 7E0E4507
	v_mul_f32_e32 v120, v120, v4                               // 00000000554C: 0AF00978
	v_mul_f32_e32 v121, v121, v5                               // 000000005550: 0AF20B79
	v_mul_f32_e32 v122, v122, v6                               // 000000005554: 0AF40D7A
	v_mul_f32_e32 v123, v123, v7                               // 000000005558: 0AF60F7B
	v_mul_f32_e32 v120, v120, v200                             // 00000000555C: 0AF19178
	v_mul_f32_e32 v121, v121, v201                             // 000000005560: 0AF39379
	v_mul_f32_e32 v122, v122, v202                             // 000000005564: 0AF5957A
	v_mul_f32_e32 v123, v123, v203                             // 000000005568: 0AF7977B
	v_pk_mul_f32 v[4:5], v[124:125], v[124:125]                // 00000000556C: D3B14004 1802F97C
	v_pk_mul_f32 v[6:7], v[126:127], v[126:127]                // 000000005574: D3B14006 1802FD7E
	v_pk_fma_f32 v[4:5], v[4:5], s[78:79], v[8:9]              // 00000000557C: D3B04004 1C209D04
	v_pk_fma_f32 v[6:7], v[6:7], s[78:79], v[8:9]              // 000000005584: D3B04006 1C209D06
	v_pk_mul_f32 v[4:5], v[4:5], v[124:125]                    // 00000000558C: D3B14004 1802F904
	v_pk_mul_f32 v[6:7], v[6:7], v[126:127]                    // 000000005594: D3B14006 1802FD06
	v_pk_mul_f32 v[4:5], v[4:5], s[60:61]                      // 00000000559C: D3B14004 18007904
	v_pk_mul_f32 v[6:7], v[6:7], s[60:61]                      // 0000000055A4: D3B14006 18007906
	v_exp_f32_e32 v4, v4                                       // 0000000055AC: 7E084104
	v_exp_f32_e32 v5, v5                                       // 0000000055B0: 7E0A4105
	v_exp_f32_e32 v6, v6                                       // 0000000055B4: 7E0C4106
	v_exp_f32_e32 v7, v7                                       // 0000000055B8: 7E0E4107
	v_add_f32_e64 v4, v4, 1.0                                  // 0000000055BC: D1010004 0001E504
	v_add_f32_e64 v5, v5, 1.0                                  // 0000000055C4: D1010005 0001E505
	v_add_f32_e64 v6, v6, 1.0                                  // 0000000055CC: D1010006 0001E506
	v_add_f32_e64 v7, v7, 1.0                                  // 0000000055D4: D1010007 0001E507
	v_rcp_f32_e32 v4, v4                                       // 0000000055DC: 7E084504
	v_rcp_f32_e32 v5, v5                                       // 0000000055E0: 7E0A4505
	v_rcp_f32_e32 v6, v6                                       // 0000000055E4: 7E0C4506
	v_rcp_f32_e32 v7, v7                                       // 0000000055E8: 7E0E4507
	v_mul_f32_e32 v124, v124, v4                               // 0000000055EC: 0AF8097C
	v_mul_f32_e32 v125, v125, v5                               // 0000000055F0: 0AFA0B7D
	v_mul_f32_e32 v126, v126, v6                               // 0000000055F4: 0AFC0D7E
	v_mul_f32_e32 v127, v127, v7                               // 0000000055F8: 0AFE0F7F
	v_mul_f32_e32 v124, v124, v204                             // 0000000055FC: 0AF9997C
	v_mul_f32_e32 v125, v125, v205                             // 000000005600: 0AFB9B7D
	v_mul_f32_e32 v126, v126, v206                             // 000000005604: 0AFD9D7E
	v_mul_f32_e32 v127, v127, v207                             // 000000005608: 0AFF9F7F
	v_pk_mul_f32 v[4:5], v[128:129], v[128:129]                // 00000000560C: D3B14004 18030180
	v_pk_mul_f32 v[6:7], v[130:131], v[130:131]                // 000000005614: D3B14006 18030582
	v_pk_fma_f32 v[4:5], v[4:5], s[78:79], v[8:9]              // 00000000561C: D3B04004 1C209D04
	v_pk_fma_f32 v[6:7], v[6:7], s[78:79], v[8:9]              // 000000005624: D3B04006 1C209D06
	v_pk_mul_f32 v[4:5], v[4:5], v[128:129]                    // 00000000562C: D3B14004 18030104
	v_pk_mul_f32 v[6:7], v[6:7], v[130:131]                    // 000000005634: D3B14006 18030506
	v_pk_mul_f32 v[4:5], v[4:5], s[60:61]                      // 00000000563C: D3B14004 18007904
	v_pk_mul_f32 v[6:7], v[6:7], s[60:61]                      // 000000005644: D3B14006 18007906
	v_exp_f32_e32 v4, v4                                       // 00000000564C: 7E084104
	v_exp_f32_e32 v5, v5                                       // 000000005650: 7E0A4105
	v_exp_f32_e32 v6, v6                                       // 000000005654: 7E0C4106
	v_exp_f32_e32 v7, v7                                       // 000000005658: 7E0E4107
	v_add_f32_e64 v4, v4, 1.0                                  // 00000000565C: D1010004 0001E504
	v_add_f32_e64 v5, v5, 1.0                                  // 000000005664: D1010005 0001E505
	v_add_f32_e64 v6, v6, 1.0                                  // 00000000566C: D1010006 0001E506
	v_add_f32_e64 v7, v7, 1.0                                  // 000000005674: D1010007 0001E507
	v_rcp_f32_e32 v4, v4                                       // 00000000567C: 7E084504
	v_rcp_f32_e32 v5, v5                                       // 000000005680: 7E0A4505
	v_rcp_f32_e32 v6, v6                                       // 000000005684: 7E0C4506
	v_rcp_f32_e32 v7, v7                                       // 000000005688: 7E0E4507
	v_mul_f32_e32 v128, v128, v4                               // 00000000568C: 0B000980
	v_mul_f32_e32 v129, v129, v5                               // 000000005690: 0B020B81
	v_mul_f32_e32 v130, v130, v6                               // 000000005694: 0B040D82
	v_mul_f32_e32 v131, v131, v7                               // 000000005698: 0B060F83
	v_mul_f32_e32 v128, v128, v208                             // 00000000569C: 0B01A180
	v_mul_f32_e32 v129, v129, v209                             // 0000000056A0: 0B03A381
	v_mul_f32_e32 v130, v130, v210                             // 0000000056A4: 0B05A582
	v_mul_f32_e32 v131, v131, v211                             // 0000000056A8: 0B07A783
	v_pk_mul_f32 v[4:5], v[132:133], v[132:133]                // 0000000056AC: D3B14004 18030984
	v_pk_mul_f32 v[6:7], v[134:135], v[134:135]                // 0000000056B4: D3B14006 18030D86
	v_pk_fma_f32 v[4:5], v[4:5], s[78:79], v[8:9]              // 0000000056BC: D3B04004 1C209D04
	v_pk_fma_f32 v[6:7], v[6:7], s[78:79], v[8:9]              // 0000000056C4: D3B04006 1C209D06
	v_pk_mul_f32 v[4:5], v[4:5], v[132:133]                    // 0000000056CC: D3B14004 18030904
	v_pk_mul_f32 v[6:7], v[6:7], v[134:135]                    // 0000000056D4: D3B14006 18030D06
	v_pk_mul_f32 v[4:5], v[4:5], s[60:61]                      // 0000000056DC: D3B14004 18007904
	v_pk_mul_f32 v[6:7], v[6:7], s[60:61]                      // 0000000056E4: D3B14006 18007906
	v_exp_f32_e32 v4, v4                                       // 0000000056EC: 7E084104
	v_exp_f32_e32 v5, v5                                       // 0000000056F0: 7E0A4105
	v_exp_f32_e32 v6, v6                                       // 0000000056F4: 7E0C4106
	v_exp_f32_e32 v7, v7                                       // 0000000056F8: 7E0E4107
	v_add_f32_e64 v4, v4, 1.0                                  // 0000000056FC: D1010004 0001E504
	v_add_f32_e64 v5, v5, 1.0                                  // 000000005704: D1010005 0001E505
	v_add_f32_e64 v6, v6, 1.0                                  // 00000000570C: D1010006 0001E506
	v_add_f32_e64 v7, v7, 1.0                                  // 000000005714: D1010007 0001E507
	v_rcp_f32_e32 v4, v4                                       // 00000000571C: 7E084504
	v_rcp_f32_e32 v5, v5                                       // 000000005720: 7E0A4505
	v_rcp_f32_e32 v6, v6                                       // 000000005724: 7E0C4506
	v_rcp_f32_e32 v7, v7                                       // 000000005728: 7E0E4507
	v_mul_f32_e32 v132, v132, v4                               // 00000000572C: 0B080984
	v_mul_f32_e32 v133, v133, v5                               // 000000005730: 0B0A0B85
	v_mul_f32_e32 v134, v134, v6                               // 000000005734: 0B0C0D86
	v_mul_f32_e32 v135, v135, v7                               // 000000005738: 0B0E0F87
	v_mul_f32_e32 v132, v132, v212                             // 00000000573C: 0B09A984
	v_mul_f32_e32 v133, v133, v213                             // 000000005740: 0B0BAB85
	v_mul_f32_e32 v134, v134, v214                             // 000000005744: 0B0DAD86
	v_mul_f32_e32 v135, v135, v215                             // 000000005748: 0B0FAF87
	v_pk_mul_f32 v[4:5], v[136:137], v[136:137]                // 00000000574C: D3B14004 18031188
	v_pk_mul_f32 v[6:7], v[138:139], v[138:139]                // 000000005754: D3B14006 1803158A
	v_pk_fma_f32 v[4:5], v[4:5], s[78:79], v[8:9]              // 00000000575C: D3B04004 1C209D04
	v_pk_fma_f32 v[6:7], v[6:7], s[78:79], v[8:9]              // 000000005764: D3B04006 1C209D06
	v_pk_mul_f32 v[4:5], v[4:5], v[136:137]                    // 00000000576C: D3B14004 18031104
	v_pk_mul_f32 v[6:7], v[6:7], v[138:139]                    // 000000005774: D3B14006 18031506
	v_pk_mul_f32 v[4:5], v[4:5], s[60:61]                      // 00000000577C: D3B14004 18007904
	v_pk_mul_f32 v[6:7], v[6:7], s[60:61]                      // 000000005784: D3B14006 18007906
	v_exp_f32_e32 v4, v4                                       // 00000000578C: 7E084104
	v_exp_f32_e32 v5, v5                                       // 000000005790: 7E0A4105
	v_exp_f32_e32 v6, v6                                       // 000000005794: 7E0C4106
	v_exp_f32_e32 v7, v7                                       // 000000005798: 7E0E4107
	v_add_f32_e64 v4, v4, 1.0                                  // 00000000579C: D1010004 0001E504
	v_add_f32_e64 v5, v5, 1.0                                  // 0000000057A4: D1010005 0001E505
	v_add_f32_e64 v6, v6, 1.0                                  // 0000000057AC: D1010006 0001E506
	v_add_f32_e64 v7, v7, 1.0                                  // 0000000057B4: D1010007 0001E507
	v_rcp_f32_e32 v4, v4                                       // 0000000057BC: 7E084504
	v_rcp_f32_e32 v5, v5                                       // 0000000057C0: 7E0A4505
	v_rcp_f32_e32 v6, v6                                       // 0000000057C4: 7E0C4506
	v_rcp_f32_e32 v7, v7                                       // 0000000057C8: 7E0E4507
	v_mul_f32_e32 v136, v136, v4                               // 0000000057CC: 0B100988
	v_mul_f32_e32 v137, v137, v5                               // 0000000057D0: 0B120B89
	v_mul_f32_e32 v138, v138, v6                               // 0000000057D4: 0B140D8A
	v_mul_f32_e32 v139, v139, v7                               // 0000000057D8: 0B160F8B
	v_mul_f32_e32 v136, v136, v216                             // 0000000057DC: 0B11B188
	v_mul_f32_e32 v137, v137, v217                             // 0000000057E0: 0B13B389
	v_mul_f32_e32 v138, v138, v218                             // 0000000057E4: 0B15B58A
	v_mul_f32_e32 v139, v139, v219                             // 0000000057E8: 0B17B78B
	v_pk_mul_f32 v[4:5], v[140:141], v[140:141]                // 0000000057EC: D3B14004 1803198C
	v_pk_mul_f32 v[6:7], v[142:143], v[142:143]                // 0000000057F4: D3B14006 18031D8E
	v_pk_fma_f32 v[4:5], v[4:5], s[78:79], v[8:9]              // 0000000057FC: D3B04004 1C209D04
	v_pk_fma_f32 v[6:7], v[6:7], s[78:79], v[8:9]              // 000000005804: D3B04006 1C209D06
	v_pk_mul_f32 v[4:5], v[4:5], v[140:141]                    // 00000000580C: D3B14004 18031904
	v_pk_mul_f32 v[6:7], v[6:7], v[142:143]                    // 000000005814: D3B14006 18031D06
	v_pk_mul_f32 v[4:5], v[4:5], s[60:61]                      // 00000000581C: D3B14004 18007904
	v_pk_mul_f32 v[6:7], v[6:7], s[60:61]                      // 000000005824: D3B14006 18007906
	v_exp_f32_e32 v4, v4                                       // 00000000582C: 7E084104
	v_exp_f32_e32 v5, v5                                       // 000000005830: 7E0A4105
	v_exp_f32_e32 v6, v6                                       // 000000005834: 7E0C4106
	v_exp_f32_e32 v7, v7                                       // 000000005838: 7E0E4107
	v_add_f32_e64 v4, v4, 1.0                                  // 00000000583C: D1010004 0001E504
	v_add_f32_e64 v5, v5, 1.0                                  // 000000005844: D1010005 0001E505
	v_add_f32_e64 v6, v6, 1.0                                  // 00000000584C: D1010006 0001E506
	v_add_f32_e64 v7, v7, 1.0                                  // 000000005854: D1010007 0001E507
	v_rcp_f32_e32 v4, v4                                       // 00000000585C: 7E084504
	v_rcp_f32_e32 v5, v5                                       // 000000005860: 7E0A4505
	v_rcp_f32_e32 v6, v6                                       // 000000005864: 7E0C4506
	v_rcp_f32_e32 v7, v7                                       // 000000005868: 7E0E4507
	v_mul_f32_e32 v140, v140, v4                               // 00000000586C: 0B18098C
	v_mul_f32_e32 v141, v141, v5                               // 000000005870: 0B1A0B8D
	v_mul_f32_e32 v142, v142, v6                               // 000000005874: 0B1C0D8E
	v_mul_f32_e32 v143, v143, v7                               // 000000005878: 0B1E0F8F
	v_mul_f32_e32 v140, v140, v220                             // 00000000587C: 0B19B98C
	v_mul_f32_e32 v141, v141, v221                             // 000000005880: 0B1BBB8D
	v_mul_f32_e32 v142, v142, v222                             // 000000005884: 0B1DBD8E
	v_mul_f32_e32 v143, v143, v223                             // 000000005888: 0B1FBF8F
	s_branch label_0E24                                        // 00000000588C: BF820280

0000000000005890 <label_0BA4>:
	v_mul_f32_e64 v4, -v64, s6                                 // 000000005890: D1050004 20000D40
	v_mul_f32_e64 v5, -v65, s6                                 // 000000005898: D1050005 20000D41
	v_mul_f32_e64 v6, -v66, s6                                 // 0000000058A0: D1050006 20000D42
	v_mul_f32_e64 v7, -v67, s6                                 // 0000000058A8: D1050007 20000D43
	v_exp_f32_e32 v4, v4                                       // 0000000058B0: 7E084104
	v_exp_f32_e32 v5, v5                                       // 0000000058B4: 7E0A4105
	v_exp_f32_e32 v6, v6                                       // 0000000058B8: 7E0C4106
	v_exp_f32_e32 v7, v7                                       // 0000000058BC: 7E0E4107
	v_add_f32_e64 v4, v4, 1.0                                  // 0000000058C0: D1010004 0001E504
	v_add_f32_e64 v5, v5, 1.0                                  // 0000000058C8: D1010005 0001E505
	v_add_f32_e64 v6, v6, 1.0                                  // 0000000058D0: D1010006 0001E506
	v_add_f32_e64 v7, v7, 1.0                                  // 0000000058D8: D1010007 0001E507
	v_rcp_f32_e32 v4, v4                                       // 0000000058E0: 7E084504
	v_rcp_f32_e32 v5, v5                                       // 0000000058E4: 7E0A4505
	v_rcp_f32_e32 v6, v6                                       // 0000000058E8: 7E0C4506
	v_rcp_f32_e32 v7, v7                                       // 0000000058EC: 7E0E4507
	v_mul_f32_e32 v64, v64, v4                                 // 0000000058F0: 0A800940
	v_mul_f32_e32 v65, v65, v5                                 // 0000000058F4: 0A820B41
	v_mul_f32_e32 v66, v66, v6                                 // 0000000058F8: 0A840D42
	v_mul_f32_e32 v67, v67, v7                                 // 0000000058FC: 0A860F43
	v_mul_f32_e32 v64, v64, v144                               // 000000005900: 0A812140
	v_mul_f32_e32 v65, v65, v145                               // 000000005904: 0A832341
	v_mul_f32_e32 v66, v66, v146                               // 000000005908: 0A852542
	v_mul_f32_e32 v67, v67, v147                               // 00000000590C: 0A872743
	v_mul_f32_e64 v4, -v68, s6                                 // 000000005910: D1050004 20000D44
	v_mul_f32_e64 v5, -v69, s6                                 // 000000005918: D1050005 20000D45
	v_mul_f32_e64 v6, -v70, s6                                 // 000000005920: D1050006 20000D46
	v_mul_f32_e64 v7, -v71, s6                                 // 000000005928: D1050007 20000D47
	v_exp_f32_e32 v4, v4                                       // 000000005930: 7E084104
	v_exp_f32_e32 v5, v5                                       // 000000005934: 7E0A4105
	v_exp_f32_e32 v6, v6                                       // 000000005938: 7E0C4106
	v_exp_f32_e32 v7, v7                                       // 00000000593C: 7E0E4107
	v_add_f32_e64 v4, v4, 1.0                                  // 000000005940: D1010004 0001E504
	v_add_f32_e64 v5, v5, 1.0                                  // 000000005948: D1010005 0001E505
	v_add_f32_e64 v6, v6, 1.0                                  // 000000005950: D1010006 0001E506
	v_add_f32_e64 v7, v7, 1.0                                  // 000000005958: D1010007 0001E507
	v_rcp_f32_e32 v4, v4                                       // 000000005960: 7E084504
	v_rcp_f32_e32 v5, v5                                       // 000000005964: 7E0A4505
	v_rcp_f32_e32 v6, v6                                       // 000000005968: 7E0C4506
	v_rcp_f32_e32 v7, v7                                       // 00000000596C: 7E0E4507
	v_mul_f32_e32 v68, v68, v4                                 // 000000005970: 0A880944
	v_mul_f32_e32 v69, v69, v5                                 // 000000005974: 0A8A0B45
	v_mul_f32_e32 v70, v70, v6                                 // 000000005978: 0A8C0D46
	v_mul_f32_e32 v71, v71, v7                                 // 00000000597C: 0A8E0F47
	v_mul_f32_e32 v68, v68, v148                               // 000000005980: 0A892944
	v_mul_f32_e32 v69, v69, v149                               // 000000005984: 0A8B2B45
	v_mul_f32_e32 v70, v70, v150                               // 000000005988: 0A8D2D46
	v_mul_f32_e32 v71, v71, v151                               // 00000000598C: 0A8F2F47
	v_mul_f32_e64 v4, -v72, s6                                 // 000000005990: D1050004 20000D48
	v_mul_f32_e64 v5, -v73, s6                                 // 000000005998: D1050005 20000D49
	v_mul_f32_e64 v6, -v74, s6                                 // 0000000059A0: D1050006 20000D4A
	v_mul_f32_e64 v7, -v75, s6                                 // 0000000059A8: D1050007 20000D4B
	v_exp_f32_e32 v4, v4                                       // 0000000059B0: 7E084104
	v_exp_f32_e32 v5, v5                                       // 0000000059B4: 7E0A4105
	v_exp_f32_e32 v6, v6                                       // 0000000059B8: 7E0C4106
	v_exp_f32_e32 v7, v7                                       // 0000000059BC: 7E0E4107
	v_add_f32_e64 v4, v4, 1.0                                  // 0000000059C0: D1010004 0001E504
	v_add_f32_e64 v5, v5, 1.0                                  // 0000000059C8: D1010005 0001E505
	v_add_f32_e64 v6, v6, 1.0                                  // 0000000059D0: D1010006 0001E506
	v_add_f32_e64 v7, v7, 1.0                                  // 0000000059D8: D1010007 0001E507
	v_rcp_f32_e32 v4, v4                                       // 0000000059E0: 7E084504
	v_rcp_f32_e32 v5, v5                                       // 0000000059E4: 7E0A4505
	v_rcp_f32_e32 v6, v6                                       // 0000000059E8: 7E0C4506
	v_rcp_f32_e32 v7, v7                                       // 0000000059EC: 7E0E4507
	v_mul_f32_e32 v72, v72, v4                                 // 0000000059F0: 0A900948
	v_mul_f32_e32 v73, v73, v5                                 // 0000000059F4: 0A920B49
	v_mul_f32_e32 v74, v74, v6                                 // 0000000059F8: 0A940D4A
	v_mul_f32_e32 v75, v75, v7                                 // 0000000059FC: 0A960F4B
	v_mul_f32_e32 v72, v72, v152                               // 000000005A00: 0A913148
	v_mul_f32_e32 v73, v73, v153                               // 000000005A04: 0A933349
	v_mul_f32_e32 v74, v74, v154                               // 000000005A08: 0A95354A
	v_mul_f32_e32 v75, v75, v155                               // 000000005A0C: 0A97374B
	v_mul_f32_e64 v4, -v76, s6                                 // 000000005A10: D1050004 20000D4C
	v_mul_f32_e64 v5, -v77, s6                                 // 000000005A18: D1050005 20000D4D
	v_mul_f32_e64 v6, -v78, s6                                 // 000000005A20: D1050006 20000D4E
	v_mul_f32_e64 v7, -v79, s6                                 // 000000005A28: D1050007 20000D4F
	v_exp_f32_e32 v4, v4                                       // 000000005A30: 7E084104
	v_exp_f32_e32 v5, v5                                       // 000000005A34: 7E0A4105
	v_exp_f32_e32 v6, v6                                       // 000000005A38: 7E0C4106
	v_exp_f32_e32 v7, v7                                       // 000000005A3C: 7E0E4107
	v_add_f32_e64 v4, v4, 1.0                                  // 000000005A40: D1010004 0001E504
	v_add_f32_e64 v5, v5, 1.0                                  // 000000005A48: D1010005 0001E505
	v_add_f32_e64 v6, v6, 1.0                                  // 000000005A50: D1010006 0001E506
	v_add_f32_e64 v7, v7, 1.0                                  // 000000005A58: D1010007 0001E507
	v_rcp_f32_e32 v4, v4                                       // 000000005A60: 7E084504
	v_rcp_f32_e32 v5, v5                                       // 000000005A64: 7E0A4505
	v_rcp_f32_e32 v6, v6                                       // 000000005A68: 7E0C4506
	v_rcp_f32_e32 v7, v7                                       // 000000005A6C: 7E0E4507
	v_mul_f32_e32 v76, v76, v4                                 // 000000005A70: 0A98094C
	v_mul_f32_e32 v77, v77, v5                                 // 000000005A74: 0A9A0B4D
	v_mul_f32_e32 v78, v78, v6                                 // 000000005A78: 0A9C0D4E
	v_mul_f32_e32 v79, v79, v7                                 // 000000005A7C: 0A9E0F4F
	v_mul_f32_e32 v76, v76, v156                               // 000000005A80: 0A99394C
	v_mul_f32_e32 v77, v77, v157                               // 000000005A84: 0A9B3B4D
	v_mul_f32_e32 v78, v78, v158                               // 000000005A88: 0A9D3D4E
	v_mul_f32_e32 v79, v79, v159                               // 000000005A8C: 0A9F3F4F
	v_mul_f32_e64 v4, -v80, s6                                 // 000000005A90: D1050004 20000D50
	v_mul_f32_e64 v5, -v81, s6                                 // 000000005A98: D1050005 20000D51
	v_mul_f32_e64 v6, -v82, s6                                 // 000000005AA0: D1050006 20000D52
	v_mul_f32_e64 v7, -v83, s6                                 // 000000005AA8: D1050007 20000D53
	v_exp_f32_e32 v4, v4                                       // 000000005AB0: 7E084104
	v_exp_f32_e32 v5, v5                                       // 000000005AB4: 7E0A4105
	v_exp_f32_e32 v6, v6                                       // 000000005AB8: 7E0C4106
	v_exp_f32_e32 v7, v7                                       // 000000005ABC: 7E0E4107
	v_add_f32_e64 v4, v4, 1.0                                  // 000000005AC0: D1010004 0001E504
	v_add_f32_e64 v5, v5, 1.0                                  // 000000005AC8: D1010005 0001E505
	v_add_f32_e64 v6, v6, 1.0                                  // 000000005AD0: D1010006 0001E506
	v_add_f32_e64 v7, v7, 1.0                                  // 000000005AD8: D1010007 0001E507
	v_rcp_f32_e32 v4, v4                                       // 000000005AE0: 7E084504
	v_rcp_f32_e32 v5, v5                                       // 000000005AE4: 7E0A4505
	v_rcp_f32_e32 v6, v6                                       // 000000005AE8: 7E0C4506
	v_rcp_f32_e32 v7, v7                                       // 000000005AEC: 7E0E4507
	v_mul_f32_e32 v80, v80, v4                                 // 000000005AF0: 0AA00950
	v_mul_f32_e32 v81, v81, v5                                 // 000000005AF4: 0AA20B51
	v_mul_f32_e32 v82, v82, v6                                 // 000000005AF8: 0AA40D52
	v_mul_f32_e32 v83, v83, v7                                 // 000000005AFC: 0AA60F53
	v_mul_f32_e32 v80, v80, v160                               // 000000005B00: 0AA14150
	v_mul_f32_e32 v81, v81, v161                               // 000000005B04: 0AA34351
	v_mul_f32_e32 v82, v82, v162                               // 000000005B08: 0AA54552
	v_mul_f32_e32 v83, v83, v163                               // 000000005B0C: 0AA74753
	v_mul_f32_e64 v4, -v84, s6                                 // 000000005B10: D1050004 20000D54
	v_mul_f32_e64 v5, -v85, s6                                 // 000000005B18: D1050005 20000D55
	v_mul_f32_e64 v6, -v86, s6                                 // 000000005B20: D1050006 20000D56
	v_mul_f32_e64 v7, -v87, s6                                 // 000000005B28: D1050007 20000D57
	v_exp_f32_e32 v4, v4                                       // 000000005B30: 7E084104
	v_exp_f32_e32 v5, v5                                       // 000000005B34: 7E0A4105
	v_exp_f32_e32 v6, v6                                       // 000000005B38: 7E0C4106
	v_exp_f32_e32 v7, v7                                       // 000000005B3C: 7E0E4107
	v_add_f32_e64 v4, v4, 1.0                                  // 000000005B40: D1010004 0001E504
	v_add_f32_e64 v5, v5, 1.0                                  // 000000005B48: D1010005 0001E505
	v_add_f32_e64 v6, v6, 1.0                                  // 000000005B50: D1010006 0001E506
	v_add_f32_e64 v7, v7, 1.0                                  // 000000005B58: D1010007 0001E507
	v_rcp_f32_e32 v4, v4                                       // 000000005B60: 7E084504
	v_rcp_f32_e32 v5, v5                                       // 000000005B64: 7E0A4505
	v_rcp_f32_e32 v6, v6                                       // 000000005B68: 7E0C4506
	v_rcp_f32_e32 v7, v7                                       // 000000005B6C: 7E0E4507
	v_mul_f32_e32 v84, v84, v4                                 // 000000005B70: 0AA80954
	v_mul_f32_e32 v85, v85, v5                                 // 000000005B74: 0AAA0B55
	v_mul_f32_e32 v86, v86, v6                                 // 000000005B78: 0AAC0D56
	v_mul_f32_e32 v87, v87, v7                                 // 000000005B7C: 0AAE0F57
	v_mul_f32_e32 v84, v84, v164                               // 000000005B80: 0AA94954
	v_mul_f32_e32 v85, v85, v165                               // 000000005B84: 0AAB4B55
	v_mul_f32_e32 v86, v86, v166                               // 000000005B88: 0AAD4D56
	v_mul_f32_e32 v87, v87, v167                               // 000000005B8C: 0AAF4F57
	v_mul_f32_e64 v4, -v88, s6                                 // 000000005B90: D1050004 20000D58
	v_mul_f32_e64 v5, -v89, s6                                 // 000000005B98: D1050005 20000D59
	v_mul_f32_e64 v6, -v90, s6                                 // 000000005BA0: D1050006 20000D5A
	v_mul_f32_e64 v7, -v91, s6                                 // 000000005BA8: D1050007 20000D5B
	v_exp_f32_e32 v4, v4                                       // 000000005BB0: 7E084104
	v_exp_f32_e32 v5, v5                                       // 000000005BB4: 7E0A4105
	v_exp_f32_e32 v6, v6                                       // 000000005BB8: 7E0C4106
	v_exp_f32_e32 v7, v7                                       // 000000005BBC: 7E0E4107
	v_add_f32_e64 v4, v4, 1.0                                  // 000000005BC0: D1010004 0001E504
	v_add_f32_e64 v5, v5, 1.0                                  // 000000005BC8: D1010005 0001E505
	v_add_f32_e64 v6, v6, 1.0                                  // 000000005BD0: D1010006 0001E506
	v_add_f32_e64 v7, v7, 1.0                                  // 000000005BD8: D1010007 0001E507
	v_rcp_f32_e32 v4, v4                                       // 000000005BE0: 7E084504
	v_rcp_f32_e32 v5, v5                                       // 000000005BE4: 7E0A4505
	v_rcp_f32_e32 v6, v6                                       // 000000005BE8: 7E0C4506
	v_rcp_f32_e32 v7, v7                                       // 000000005BEC: 7E0E4507
	v_mul_f32_e32 v88, v88, v4                                 // 000000005BF0: 0AB00958
	v_mul_f32_e32 v89, v89, v5                                 // 000000005BF4: 0AB20B59
	v_mul_f32_e32 v90, v90, v6                                 // 000000005BF8: 0AB40D5A
	v_mul_f32_e32 v91, v91, v7                                 // 000000005BFC: 0AB60F5B
	v_mul_f32_e32 v88, v88, v168                               // 000000005C00: 0AB15158
	v_mul_f32_e32 v89, v89, v169                               // 000000005C04: 0AB35359
	v_mul_f32_e32 v90, v90, v170                               // 000000005C08: 0AB5555A
	v_mul_f32_e32 v91, v91, v171                               // 000000005C0C: 0AB7575B
	v_mul_f32_e64 v4, -v92, s6                                 // 000000005C10: D1050004 20000D5C
	v_mul_f32_e64 v5, -v93, s6                                 // 000000005C18: D1050005 20000D5D
	v_mul_f32_e64 v6, -v94, s6                                 // 000000005C20: D1050006 20000D5E
	v_mul_f32_e64 v7, -v95, s6                                 // 000000005C28: D1050007 20000D5F
	v_exp_f32_e32 v4, v4                                       // 000000005C30: 7E084104
	v_exp_f32_e32 v5, v5                                       // 000000005C34: 7E0A4105
	v_exp_f32_e32 v6, v6                                       // 000000005C38: 7E0C4106
	v_exp_f32_e32 v7, v7                                       // 000000005C3C: 7E0E4107
	v_add_f32_e64 v4, v4, 1.0                                  // 000000005C40: D1010004 0001E504
	v_add_f32_e64 v5, v5, 1.0                                  // 000000005C48: D1010005 0001E505
	v_add_f32_e64 v6, v6, 1.0                                  // 000000005C50: D1010006 0001E506
	v_add_f32_e64 v7, v7, 1.0                                  // 000000005C58: D1010007 0001E507
	v_rcp_f32_e32 v4, v4                                       // 000000005C60: 7E084504
	v_rcp_f32_e32 v5, v5                                       // 000000005C64: 7E0A4505
	v_rcp_f32_e32 v6, v6                                       // 000000005C68: 7E0C4506
	v_rcp_f32_e32 v7, v7                                       // 000000005C6C: 7E0E4507
	v_mul_f32_e32 v92, v92, v4                                 // 000000005C70: 0AB8095C
	v_mul_f32_e32 v93, v93, v5                                 // 000000005C74: 0ABA0B5D
	v_mul_f32_e32 v94, v94, v6                                 // 000000005C78: 0ABC0D5E
	v_mul_f32_e32 v95, v95, v7                                 // 000000005C7C: 0ABE0F5F
	v_mul_f32_e32 v92, v92, v172                               // 000000005C80: 0AB9595C
	v_mul_f32_e32 v93, v93, v173                               // 000000005C84: 0ABB5B5D
	v_mul_f32_e32 v94, v94, v174                               // 000000005C88: 0ABD5D5E
	v_mul_f32_e32 v95, v95, v175                               // 000000005C8C: 0ABF5F5F
	v_mul_f32_e64 v4, -v96, s6                                 // 000000005C90: D1050004 20000D60
	v_mul_f32_e64 v5, -v97, s6                                 // 000000005C98: D1050005 20000D61
	v_mul_f32_e64 v6, -v98, s6                                 // 000000005CA0: D1050006 20000D62
	v_mul_f32_e64 v7, -v99, s6                                 // 000000005CA8: D1050007 20000D63
	v_exp_f32_e32 v4, v4                                       // 000000005CB0: 7E084104
	v_exp_f32_e32 v5, v5                                       // 000000005CB4: 7E0A4105
	v_exp_f32_e32 v6, v6                                       // 000000005CB8: 7E0C4106
	v_exp_f32_e32 v7, v7                                       // 000000005CBC: 7E0E4107
	v_add_f32_e64 v4, v4, 1.0                                  // 000000005CC0: D1010004 0001E504
	v_add_f32_e64 v5, v5, 1.0                                  // 000000005CC8: D1010005 0001E505
	v_add_f32_e64 v6, v6, 1.0                                  // 000000005CD0: D1010006 0001E506
	v_add_f32_e64 v7, v7, 1.0                                  // 000000005CD8: D1010007 0001E507
	v_rcp_f32_e32 v4, v4                                       // 000000005CE0: 7E084504
	v_rcp_f32_e32 v5, v5                                       // 000000005CE4: 7E0A4505
	v_rcp_f32_e32 v6, v6                                       // 000000005CE8: 7E0C4506
	v_rcp_f32_e32 v7, v7                                       // 000000005CEC: 7E0E4507
	v_mul_f32_e32 v96, v96, v4                                 // 000000005CF0: 0AC00960
	v_mul_f32_e32 v97, v97, v5                                 // 000000005CF4: 0AC20B61
	v_mul_f32_e32 v98, v98, v6                                 // 000000005CF8: 0AC40D62
	v_mul_f32_e32 v99, v99, v7                                 // 000000005CFC: 0AC60F63
	v_mul_f32_e32 v96, v96, v176                               // 000000005D00: 0AC16160
	v_mul_f32_e32 v97, v97, v177                               // 000000005D04: 0AC36361
	v_mul_f32_e32 v98, v98, v178                               // 000000005D08: 0AC56562
	v_mul_f32_e32 v99, v99, v179                               // 000000005D0C: 0AC76763
	v_mul_f32_e64 v4, -v100, s6                                // 000000005D10: D1050004 20000D64
	v_mul_f32_e64 v5, -v101, s6                                // 000000005D18: D1050005 20000D65
	v_mul_f32_e64 v6, -v102, s6                                // 000000005D20: D1050006 20000D66
	v_mul_f32_e64 v7, -v103, s6                                // 000000005D28: D1050007 20000D67
	v_exp_f32_e32 v4, v4                                       // 000000005D30: 7E084104
	v_exp_f32_e32 v5, v5                                       // 000000005D34: 7E0A4105
	v_exp_f32_e32 v6, v6                                       // 000000005D38: 7E0C4106
	v_exp_f32_e32 v7, v7                                       // 000000005D3C: 7E0E4107
	v_add_f32_e64 v4, v4, 1.0                                  // 000000005D40: D1010004 0001E504
	v_add_f32_e64 v5, v5, 1.0                                  // 000000005D48: D1010005 0001E505
	v_add_f32_e64 v6, v6, 1.0                                  // 000000005D50: D1010006 0001E506
	v_add_f32_e64 v7, v7, 1.0                                  // 000000005D58: D1010007 0001E507
	v_rcp_f32_e32 v4, v4                                       // 000000005D60: 7E084504
	v_rcp_f32_e32 v5, v5                                       // 000000005D64: 7E0A4505
	v_rcp_f32_e32 v6, v6                                       // 000000005D68: 7E0C4506
	v_rcp_f32_e32 v7, v7                                       // 000000005D6C: 7E0E4507
	v_mul_f32_e32 v100, v100, v4                               // 000000005D70: 0AC80964
	v_mul_f32_e32 v101, v101, v5                               // 000000005D74: 0ACA0B65
	v_mul_f32_e32 v102, v102, v6                               // 000000005D78: 0ACC0D66
	v_mul_f32_e32 v103, v103, v7                               // 000000005D7C: 0ACE0F67
	v_mul_f32_e32 v100, v100, v180                             // 000000005D80: 0AC96964
	v_mul_f32_e32 v101, v101, v181                             // 000000005D84: 0ACB6B65
	v_mul_f32_e32 v102, v102, v182                             // 000000005D88: 0ACD6D66
	v_mul_f32_e32 v103, v103, v183                             // 000000005D8C: 0ACF6F67
	v_mul_f32_e64 v4, -v104, s6                                // 000000005D90: D1050004 20000D68
	v_mul_f32_e64 v5, -v105, s6                                // 000000005D98: D1050005 20000D69
	v_mul_f32_e64 v6, -v106, s6                                // 000000005DA0: D1050006 20000D6A
	v_mul_f32_e64 v7, -v107, s6                                // 000000005DA8: D1050007 20000D6B
	v_exp_f32_e32 v4, v4                                       // 000000005DB0: 7E084104
	v_exp_f32_e32 v5, v5                                       // 000000005DB4: 7E0A4105
	v_exp_f32_e32 v6, v6                                       // 000000005DB8: 7E0C4106
	v_exp_f32_e32 v7, v7                                       // 000000005DBC: 7E0E4107
	v_add_f32_e64 v4, v4, 1.0                                  // 000000005DC0: D1010004 0001E504
	v_add_f32_e64 v5, v5, 1.0                                  // 000000005DC8: D1010005 0001E505
	v_add_f32_e64 v6, v6, 1.0                                  // 000000005DD0: D1010006 0001E506
	v_add_f32_e64 v7, v7, 1.0                                  // 000000005DD8: D1010007 0001E507
	v_rcp_f32_e32 v4, v4                                       // 000000005DE0: 7E084504
	v_rcp_f32_e32 v5, v5                                       // 000000005DE4: 7E0A4505
	v_rcp_f32_e32 v6, v6                                       // 000000005DE8: 7E0C4506
	v_rcp_f32_e32 v7, v7                                       // 000000005DEC: 7E0E4507
	v_mul_f32_e32 v104, v104, v4                               // 000000005DF0: 0AD00968
	v_mul_f32_e32 v105, v105, v5                               // 000000005DF4: 0AD20B69
	v_mul_f32_e32 v106, v106, v6                               // 000000005DF8: 0AD40D6A
	v_mul_f32_e32 v107, v107, v7                               // 000000005DFC: 0AD60F6B
	v_mul_f32_e32 v104, v104, v184                             // 000000005E00: 0AD17168
	v_mul_f32_e32 v105, v105, v185                             // 000000005E04: 0AD37369
	v_mul_f32_e32 v106, v106, v186                             // 000000005E08: 0AD5756A
	v_mul_f32_e32 v107, v107, v187                             // 000000005E0C: 0AD7776B
	v_mul_f32_e64 v4, -v108, s6                                // 000000005E10: D1050004 20000D6C
	v_mul_f32_e64 v5, -v109, s6                                // 000000005E18: D1050005 20000D6D
	v_mul_f32_e64 v6, -v110, s6                                // 000000005E20: D1050006 20000D6E
	v_mul_f32_e64 v7, -v111, s6                                // 000000005E28: D1050007 20000D6F
	v_exp_f32_e32 v4, v4                                       // 000000005E30: 7E084104
	v_exp_f32_e32 v5, v5                                       // 000000005E34: 7E0A4105
	v_exp_f32_e32 v6, v6                                       // 000000005E38: 7E0C4106
	v_exp_f32_e32 v7, v7                                       // 000000005E3C: 7E0E4107
	v_add_f32_e64 v4, v4, 1.0                                  // 000000005E40: D1010004 0001E504
	v_add_f32_e64 v5, v5, 1.0                                  // 000000005E48: D1010005 0001E505
	v_add_f32_e64 v6, v6, 1.0                                  // 000000005E50: D1010006 0001E506
	v_add_f32_e64 v7, v7, 1.0                                  // 000000005E58: D1010007 0001E507
	v_rcp_f32_e32 v4, v4                                       // 000000005E60: 7E084504
	v_rcp_f32_e32 v5, v5                                       // 000000005E64: 7E0A4505
	v_rcp_f32_e32 v6, v6                                       // 000000005E68: 7E0C4506
	v_rcp_f32_e32 v7, v7                                       // 000000005E6C: 7E0E4507
	v_mul_f32_e32 v108, v108, v4                               // 000000005E70: 0AD8096C
	v_mul_f32_e32 v109, v109, v5                               // 000000005E74: 0ADA0B6D
	v_mul_f32_e32 v110, v110, v6                               // 000000005E78: 0ADC0D6E
	v_mul_f32_e32 v111, v111, v7                               // 000000005E7C: 0ADE0F6F
	v_mul_f32_e32 v108, v108, v188                             // 000000005E80: 0AD9796C
	v_mul_f32_e32 v109, v109, v189                             // 000000005E84: 0ADB7B6D
	v_mul_f32_e32 v110, v110, v190                             // 000000005E88: 0ADD7D6E
	v_mul_f32_e32 v111, v111, v191                             // 000000005E8C: 0ADF7F6F
	v_mul_f32_e64 v4, -v112, s6                                // 000000005E90: D1050004 20000D70
	v_mul_f32_e64 v5, -v113, s6                                // 000000005E98: D1050005 20000D71
	v_mul_f32_e64 v6, -v114, s6                                // 000000005EA0: D1050006 20000D72
	v_mul_f32_e64 v7, -v115, s6                                // 000000005EA8: D1050007 20000D73
	v_exp_f32_e32 v4, v4                                       // 000000005EB0: 7E084104
	v_exp_f32_e32 v5, v5                                       // 000000005EB4: 7E0A4105
	v_exp_f32_e32 v6, v6                                       // 000000005EB8: 7E0C4106
	v_exp_f32_e32 v7, v7                                       // 000000005EBC: 7E0E4107
	v_add_f32_e64 v4, v4, 1.0                                  // 000000005EC0: D1010004 0001E504
	v_add_f32_e64 v5, v5, 1.0                                  // 000000005EC8: D1010005 0001E505
	v_add_f32_e64 v6, v6, 1.0                                  // 000000005ED0: D1010006 0001E506
	v_add_f32_e64 v7, v7, 1.0                                  // 000000005ED8: D1010007 0001E507
	v_rcp_f32_e32 v4, v4                                       // 000000005EE0: 7E084504
	v_rcp_f32_e32 v5, v5                                       // 000000005EE4: 7E0A4505
	v_rcp_f32_e32 v6, v6                                       // 000000005EE8: 7E0C4506
	v_rcp_f32_e32 v7, v7                                       // 000000005EEC: 7E0E4507
	v_mul_f32_e32 v112, v112, v4                               // 000000005EF0: 0AE00970
	v_mul_f32_e32 v113, v113, v5                               // 000000005EF4: 0AE20B71
	v_mul_f32_e32 v114, v114, v6                               // 000000005EF8: 0AE40D72
	v_mul_f32_e32 v115, v115, v7                               // 000000005EFC: 0AE60F73
	v_mul_f32_e32 v112, v112, v192                             // 000000005F00: 0AE18170
	v_mul_f32_e32 v113, v113, v193                             // 000000005F04: 0AE38371
	v_mul_f32_e32 v114, v114, v194                             // 000000005F08: 0AE58572
	v_mul_f32_e32 v115, v115, v195                             // 000000005F0C: 0AE78773
	v_mul_f32_e64 v4, -v116, s6                                // 000000005F10: D1050004 20000D74
	v_mul_f32_e64 v5, -v117, s6                                // 000000005F18: D1050005 20000D75
	v_mul_f32_e64 v6, -v118, s6                                // 000000005F20: D1050006 20000D76
	v_mul_f32_e64 v7, -v119, s6                                // 000000005F28: D1050007 20000D77
	v_exp_f32_e32 v4, v4                                       // 000000005F30: 7E084104
	v_exp_f32_e32 v5, v5                                       // 000000005F34: 7E0A4105
	v_exp_f32_e32 v6, v6                                       // 000000005F38: 7E0C4106
	v_exp_f32_e32 v7, v7                                       // 000000005F3C: 7E0E4107
	v_add_f32_e64 v4, v4, 1.0                                  // 000000005F40: D1010004 0001E504
	v_add_f32_e64 v5, v5, 1.0                                  // 000000005F48: D1010005 0001E505
	v_add_f32_e64 v6, v6, 1.0                                  // 000000005F50: D1010006 0001E506
	v_add_f32_e64 v7, v7, 1.0                                  // 000000005F58: D1010007 0001E507
	v_rcp_f32_e32 v4, v4                                       // 000000005F60: 7E084504
	v_rcp_f32_e32 v5, v5                                       // 000000005F64: 7E0A4505
	v_rcp_f32_e32 v6, v6                                       // 000000005F68: 7E0C4506
	v_rcp_f32_e32 v7, v7                                       // 000000005F6C: 7E0E4507
	v_mul_f32_e32 v116, v116, v4                               // 000000005F70: 0AE80974
	v_mul_f32_e32 v117, v117, v5                               // 000000005F74: 0AEA0B75
	v_mul_f32_e32 v118, v118, v6                               // 000000005F78: 0AEC0D76
	v_mul_f32_e32 v119, v119, v7                               // 000000005F7C: 0AEE0F77
	v_mul_f32_e32 v116, v116, v196                             // 000000005F80: 0AE98974
	v_mul_f32_e32 v117, v117, v197                             // 000000005F84: 0AEB8B75
	v_mul_f32_e32 v118, v118, v198                             // 000000005F88: 0AED8D76
	v_mul_f32_e32 v119, v119, v199                             // 000000005F8C: 0AEF8F77
	v_mul_f32_e64 v4, -v120, s6                                // 000000005F90: D1050004 20000D78
	v_mul_f32_e64 v5, -v121, s6                                // 000000005F98: D1050005 20000D79
	v_mul_f32_e64 v6, -v122, s6                                // 000000005FA0: D1050006 20000D7A
	v_mul_f32_e64 v7, -v123, s6                                // 000000005FA8: D1050007 20000D7B
	v_exp_f32_e32 v4, v4                                       // 000000005FB0: 7E084104
	v_exp_f32_e32 v5, v5                                       // 000000005FB4: 7E0A4105
	v_exp_f32_e32 v6, v6                                       // 000000005FB8: 7E0C4106
	v_exp_f32_e32 v7, v7                                       // 000000005FBC: 7E0E4107
	v_add_f32_e64 v4, v4, 1.0                                  // 000000005FC0: D1010004 0001E504
	v_add_f32_e64 v5, v5, 1.0                                  // 000000005FC8: D1010005 0001E505
	v_add_f32_e64 v6, v6, 1.0                                  // 000000005FD0: D1010006 0001E506
	v_add_f32_e64 v7, v7, 1.0                                  // 000000005FD8: D1010007 0001E507
	v_rcp_f32_e32 v4, v4                                       // 000000005FE0: 7E084504
	v_rcp_f32_e32 v5, v5                                       // 000000005FE4: 7E0A4505
	v_rcp_f32_e32 v6, v6                                       // 000000005FE8: 7E0C4506
	v_rcp_f32_e32 v7, v7                                       // 000000005FEC: 7E0E4507
	v_mul_f32_e32 v120, v120, v4                               // 000000005FF0: 0AF00978
	v_mul_f32_e32 v121, v121, v5                               // 000000005FF4: 0AF20B79
	v_mul_f32_e32 v122, v122, v6                               // 000000005FF8: 0AF40D7A
	v_mul_f32_e32 v123, v123, v7                               // 000000005FFC: 0AF60F7B
	v_mul_f32_e32 v120, v120, v200                             // 000000006000: 0AF19178
	v_mul_f32_e32 v121, v121, v201                             // 000000006004: 0AF39379
	v_mul_f32_e32 v122, v122, v202                             // 000000006008: 0AF5957A
	v_mul_f32_e32 v123, v123, v203                             // 00000000600C: 0AF7977B
	v_mul_f32_e64 v4, -v124, s6                                // 000000006010: D1050004 20000D7C
	v_mul_f32_e64 v5, -v125, s6                                // 000000006018: D1050005 20000D7D
	v_mul_f32_e64 v6, -v126, s6                                // 000000006020: D1050006 20000D7E
	v_mul_f32_e64 v7, -v127, s6                                // 000000006028: D1050007 20000D7F
	v_exp_f32_e32 v4, v4                                       // 000000006030: 7E084104
	v_exp_f32_e32 v5, v5                                       // 000000006034: 7E0A4105
	v_exp_f32_e32 v6, v6                                       // 000000006038: 7E0C4106
	v_exp_f32_e32 v7, v7                                       // 00000000603C: 7E0E4107
	v_add_f32_e64 v4, v4, 1.0                                  // 000000006040: D1010004 0001E504
	v_add_f32_e64 v5, v5, 1.0                                  // 000000006048: D1010005 0001E505
	v_add_f32_e64 v6, v6, 1.0                                  // 000000006050: D1010006 0001E506
	v_add_f32_e64 v7, v7, 1.0                                  // 000000006058: D1010007 0001E507
	v_rcp_f32_e32 v4, v4                                       // 000000006060: 7E084504
	v_rcp_f32_e32 v5, v5                                       // 000000006064: 7E0A4505
	v_rcp_f32_e32 v6, v6                                       // 000000006068: 7E0C4506
	v_rcp_f32_e32 v7, v7                                       // 00000000606C: 7E0E4507
	v_mul_f32_e32 v124, v124, v4                               // 000000006070: 0AF8097C
	v_mul_f32_e32 v125, v125, v5                               // 000000006074: 0AFA0B7D
	v_mul_f32_e32 v126, v126, v6                               // 000000006078: 0AFC0D7E
	v_mul_f32_e32 v127, v127, v7                               // 00000000607C: 0AFE0F7F
	v_mul_f32_e32 v124, v124, v204                             // 000000006080: 0AF9997C
	v_mul_f32_e32 v125, v125, v205                             // 000000006084: 0AFB9B7D
	v_mul_f32_e32 v126, v126, v206                             // 000000006088: 0AFD9D7E
	v_mul_f32_e32 v127, v127, v207                             // 00000000608C: 0AFF9F7F
	v_mul_f32_e64 v4, -v128, s6                                // 000000006090: D1050004 20000D80
	v_mul_f32_e64 v5, -v129, s6                                // 000000006098: D1050005 20000D81
	v_mul_f32_e64 v6, -v130, s6                                // 0000000060A0: D1050006 20000D82
	v_mul_f32_e64 v7, -v131, s6                                // 0000000060A8: D1050007 20000D83
	v_exp_f32_e32 v4, v4                                       // 0000000060B0: 7E084104
	v_exp_f32_e32 v5, v5                                       // 0000000060B4: 7E0A4105
	v_exp_f32_e32 v6, v6                                       // 0000000060B8: 7E0C4106
	v_exp_f32_e32 v7, v7                                       // 0000000060BC: 7E0E4107
	v_add_f32_e64 v4, v4, 1.0                                  // 0000000060C0: D1010004 0001E504
	v_add_f32_e64 v5, v5, 1.0                                  // 0000000060C8: D1010005 0001E505
	v_add_f32_e64 v6, v6, 1.0                                  // 0000000060D0: D1010006 0001E506
	v_add_f32_e64 v7, v7, 1.0                                  // 0000000060D8: D1010007 0001E507
	v_rcp_f32_e32 v4, v4                                       // 0000000060E0: 7E084504
	v_rcp_f32_e32 v5, v5                                       // 0000000060E4: 7E0A4505
	v_rcp_f32_e32 v6, v6                                       // 0000000060E8: 7E0C4506
	v_rcp_f32_e32 v7, v7                                       // 0000000060EC: 7E0E4507
	v_mul_f32_e32 v128, v128, v4                               // 0000000060F0: 0B000980
	v_mul_f32_e32 v129, v129, v5                               // 0000000060F4: 0B020B81
	v_mul_f32_e32 v130, v130, v6                               // 0000000060F8: 0B040D82
	v_mul_f32_e32 v131, v131, v7                               // 0000000060FC: 0B060F83
	v_mul_f32_e32 v128, v128, v208                             // 000000006100: 0B01A180
	v_mul_f32_e32 v129, v129, v209                             // 000000006104: 0B03A381
	v_mul_f32_e32 v130, v130, v210                             // 000000006108: 0B05A582
	v_mul_f32_e32 v131, v131, v211                             // 00000000610C: 0B07A783
	v_mul_f32_e64 v4, -v132, s6                                // 000000006110: D1050004 20000D84
	v_mul_f32_e64 v5, -v133, s6                                // 000000006118: D1050005 20000D85
	v_mul_f32_e64 v6, -v134, s6                                // 000000006120: D1050006 20000D86
	v_mul_f32_e64 v7, -v135, s6                                // 000000006128: D1050007 20000D87
	v_exp_f32_e32 v4, v4                                       // 000000006130: 7E084104
	v_exp_f32_e32 v5, v5                                       // 000000006134: 7E0A4105
	v_exp_f32_e32 v6, v6                                       // 000000006138: 7E0C4106
	v_exp_f32_e32 v7, v7                                       // 00000000613C: 7E0E4107
	v_add_f32_e64 v4, v4, 1.0                                  // 000000006140: D1010004 0001E504
	v_add_f32_e64 v5, v5, 1.0                                  // 000000006148: D1010005 0001E505
	v_add_f32_e64 v6, v6, 1.0                                  // 000000006150: D1010006 0001E506
	v_add_f32_e64 v7, v7, 1.0                                  // 000000006158: D1010007 0001E507
	v_rcp_f32_e32 v4, v4                                       // 000000006160: 7E084504
	v_rcp_f32_e32 v5, v5                                       // 000000006164: 7E0A4505
	v_rcp_f32_e32 v6, v6                                       // 000000006168: 7E0C4506
	v_rcp_f32_e32 v7, v7                                       // 00000000616C: 7E0E4507
	v_mul_f32_e32 v132, v132, v4                               // 000000006170: 0B080984
	v_mul_f32_e32 v133, v133, v5                               // 000000006174: 0B0A0B85
	v_mul_f32_e32 v134, v134, v6                               // 000000006178: 0B0C0D86
	v_mul_f32_e32 v135, v135, v7                               // 00000000617C: 0B0E0F87
	v_mul_f32_e32 v132, v132, v212                             // 000000006180: 0B09A984
	v_mul_f32_e32 v133, v133, v213                             // 000000006184: 0B0BAB85
	v_mul_f32_e32 v134, v134, v214                             // 000000006188: 0B0DAD86
	v_mul_f32_e32 v135, v135, v215                             // 00000000618C: 0B0FAF87
	v_mul_f32_e64 v4, -v136, s6                                // 000000006190: D1050004 20000D88
	v_mul_f32_e64 v5, -v137, s6                                // 000000006198: D1050005 20000D89
	v_mul_f32_e64 v6, -v138, s6                                // 0000000061A0: D1050006 20000D8A
	v_mul_f32_e64 v7, -v139, s6                                // 0000000061A8: D1050007 20000D8B
	v_exp_f32_e32 v4, v4                                       // 0000000061B0: 7E084104
	v_exp_f32_e32 v5, v5                                       // 0000000061B4: 7E0A4105
	v_exp_f32_e32 v6, v6                                       // 0000000061B8: 7E0C4106
	v_exp_f32_e32 v7, v7                                       // 0000000061BC: 7E0E4107
	v_add_f32_e64 v4, v4, 1.0                                  // 0000000061C0: D1010004 0001E504
	v_add_f32_e64 v5, v5, 1.0                                  // 0000000061C8: D1010005 0001E505
	v_add_f32_e64 v6, v6, 1.0                                  // 0000000061D0: D1010006 0001E506
	v_add_f32_e64 v7, v7, 1.0                                  // 0000000061D8: D1010007 0001E507
	v_rcp_f32_e32 v4, v4                                       // 0000000061E0: 7E084504
	v_rcp_f32_e32 v5, v5                                       // 0000000061E4: 7E0A4505
	v_rcp_f32_e32 v6, v6                                       // 0000000061E8: 7E0C4506
	v_rcp_f32_e32 v7, v7                                       // 0000000061EC: 7E0E4507
	v_mul_f32_e32 v136, v136, v4                               // 0000000061F0: 0B100988
	v_mul_f32_e32 v137, v137, v5                               // 0000000061F4: 0B120B89
	v_mul_f32_e32 v138, v138, v6                               // 0000000061F8: 0B140D8A
	v_mul_f32_e32 v139, v139, v7                               // 0000000061FC: 0B160F8B
	v_mul_f32_e32 v136, v136, v216                             // 000000006200: 0B11B188
	v_mul_f32_e32 v137, v137, v217                             // 000000006204: 0B13B389
	v_mul_f32_e32 v138, v138, v218                             // 000000006208: 0B15B58A
	v_mul_f32_e32 v139, v139, v219                             // 00000000620C: 0B17B78B
	v_mul_f32_e64 v4, -v140, s6                                // 000000006210: D1050004 20000D8C
	v_mul_f32_e64 v5, -v141, s6                                // 000000006218: D1050005 20000D8D
	v_mul_f32_e64 v6, -v142, s6                                // 000000006220: D1050006 20000D8E
	v_mul_f32_e64 v7, -v143, s6                                // 000000006228: D1050007 20000D8F
	v_exp_f32_e32 v4, v4                                       // 000000006230: 7E084104
	v_exp_f32_e32 v5, v5                                       // 000000006234: 7E0A4105
	v_exp_f32_e32 v6, v6                                       // 000000006238: 7E0C4106
	v_exp_f32_e32 v7, v7                                       // 00000000623C: 7E0E4107
	v_add_f32_e64 v4, v4, 1.0                                  // 000000006240: D1010004 0001E504
	v_add_f32_e64 v5, v5, 1.0                                  // 000000006248: D1010005 0001E505
	v_add_f32_e64 v6, v6, 1.0                                  // 000000006250: D1010006 0001E506
	v_add_f32_e64 v7, v7, 1.0                                  // 000000006258: D1010007 0001E507
	v_rcp_f32_e32 v4, v4                                       // 000000006260: 7E084504
	v_rcp_f32_e32 v5, v5                                       // 000000006264: 7E0A4505
	v_rcp_f32_e32 v6, v6                                       // 000000006268: 7E0C4506
	v_rcp_f32_e32 v7, v7                                       // 00000000626C: 7E0E4507
	v_mul_f32_e32 v140, v140, v4                               // 000000006270: 0B18098C
	v_mul_f32_e32 v141, v141, v5                               // 000000006274: 0B1A0B8D
	v_mul_f32_e32 v142, v142, v6                               // 000000006278: 0B1C0D8E
	v_mul_f32_e32 v143, v143, v7                               // 00000000627C: 0B1E0F8F
	v_mul_f32_e32 v140, v140, v220                             // 000000006280: 0B19B98C
	v_mul_f32_e32 v141, v141, v221                             // 000000006284: 0B1BBB8D
	v_mul_f32_e32 v142, v142, v222                             // 000000006288: 0B1DBD8E
	v_mul_f32_e32 v143, v143, v223                             // 00000000628C: 0B1FBF8F

0000000000006290 <label_0E24>:
	v_cmp_u_f32_e64 s[46:47], v64, v64                         // 000000006290: D048002E 00028140
	v_add3_u32 v16, v64, v19, 1                                // 000000006298: D1FF0010 02062740
	v_cndmask_b32_e64 v4, v16, v18, s[46:47]                   // 0000000062A0: D1000004 00BA2510
	v_cmp_u_f32_e64 s[46:47], v65, v65                         // 0000000062A8: D048002E 00028341
	v_add3_u32 v16, v65, v19, 1                                // 0000000062B0: D1FF0010 02062741
	v_cndmask_b32_e64 v5, v16, v18, s[46:47]                   // 0000000062B8: D1000005 00BA2510
	v_perm_b32 v64, v5, v4, s52                                // 0000000062C0: D1ED0040 00D20905
	v_cmp_u_f32_e64 s[46:47], v66, v66                         // 0000000062C8: D048002E 00028542
	v_add3_u32 v16, v66, v19, 1                                // 0000000062D0: D1FF0010 02062742
	v_cndmask_b32_e64 v4, v16, v18, s[46:47]                   // 0000000062D8: D1000004 00BA2510
	v_cmp_u_f32_e64 s[46:47], v67, v67                         // 0000000062E0: D048002E 00028743
	v_add3_u32 v16, v67, v19, 1                                // 0000000062E8: D1FF0010 02062743
	v_cndmask_b32_e64 v5, v16, v18, s[46:47]                   // 0000000062F0: D1000005 00BA2510
	v_perm_b32 v65, v5, v4, s52                                // 0000000062F8: D1ED0041 00D20905
	v_cmp_u_f32_e64 s[46:47], v68, v68                         // 000000006300: D048002E 00028944
	v_add3_u32 v16, v68, v19, 1                                // 000000006308: D1FF0010 02062744
	v_cndmask_b32_e64 v4, v16, v18, s[46:47]                   // 000000006310: D1000004 00BA2510
	v_cmp_u_f32_e64 s[46:47], v69, v69                         // 000000006318: D048002E 00028B45
	v_add3_u32 v16, v69, v19, 1                                // 000000006320: D1FF0010 02062745
	v_cndmask_b32_e64 v5, v16, v18, s[46:47]                   // 000000006328: D1000005 00BA2510
	v_perm_b32 v66, v5, v4, s52                                // 000000006330: D1ED0042 00D20905
	v_cmp_u_f32_e64 s[46:47], v70, v70                         // 000000006338: D048002E 00028D46
	v_add3_u32 v16, v70, v19, 1                                // 000000006340: D1FF0010 02062746
	v_cndmask_b32_e64 v4, v16, v18, s[46:47]                   // 000000006348: D1000004 00BA2510
	v_cmp_u_f32_e64 s[46:47], v71, v71                         // 000000006350: D048002E 00028F47
	v_add3_u32 v16, v71, v19, 1                                // 000000006358: D1FF0010 02062747
	v_cndmask_b32_e64 v5, v16, v18, s[46:47]                   // 000000006360: D1000005 00BA2510
	v_perm_b32 v67, v5, v4, s52                                // 000000006368: D1ED0043 00D20905
	v_cmp_u_f32_e64 s[46:47], v72, v72                         // 000000006370: D048002E 00029148
	v_add3_u32 v16, v72, v19, 1                                // 000000006378: D1FF0010 02062748
	v_cndmask_b32_e64 v4, v16, v18, s[46:47]                   // 000000006380: D1000004 00BA2510
	v_cmp_u_f32_e64 s[46:47], v73, v73                         // 000000006388: D048002E 00029349
	v_add3_u32 v16, v73, v19, 1                                // 000000006390: D1FF0010 02062749
	v_cndmask_b32_e64 v5, v16, v18, s[46:47]                   // 000000006398: D1000005 00BA2510
	v_perm_b32 v68, v5, v4, s52                                // 0000000063A0: D1ED0044 00D20905
	v_cmp_u_f32_e64 s[46:47], v74, v74                         // 0000000063A8: D048002E 0002954A
	v_add3_u32 v16, v74, v19, 1                                // 0000000063B0: D1FF0010 0206274A
	v_cndmask_b32_e64 v4, v16, v18, s[46:47]                   // 0000000063B8: D1000004 00BA2510
	v_cmp_u_f32_e64 s[46:47], v75, v75                         // 0000000063C0: D048002E 0002974B
	v_add3_u32 v16, v75, v19, 1                                // 0000000063C8: D1FF0010 0206274B
	v_cndmask_b32_e64 v5, v16, v18, s[46:47]                   // 0000000063D0: D1000005 00BA2510
	v_perm_b32 v69, v5, v4, s52                                // 0000000063D8: D1ED0045 00D20905
	v_cmp_u_f32_e64 s[46:47], v76, v76                         // 0000000063E0: D048002E 0002994C
	v_add3_u32 v16, v76, v19, 1                                // 0000000063E8: D1FF0010 0206274C
	v_cndmask_b32_e64 v4, v16, v18, s[46:47]                   // 0000000063F0: D1000004 00BA2510
	v_cmp_u_f32_e64 s[46:47], v77, v77                         // 0000000063F8: D048002E 00029B4D
	v_add3_u32 v16, v77, v19, 1                                // 000000006400: D1FF0010 0206274D
	v_cndmask_b32_e64 v5, v16, v18, s[46:47]                   // 000000006408: D1000005 00BA2510
	v_perm_b32 v70, v5, v4, s52                                // 000000006410: D1ED0046 00D20905
	v_cmp_u_f32_e64 s[46:47], v78, v78                         // 000000006418: D048002E 00029D4E
	v_add3_u32 v16, v78, v19, 1                                // 000000006420: D1FF0010 0206274E
	v_cndmask_b32_e64 v4, v16, v18, s[46:47]                   // 000000006428: D1000004 00BA2510
	v_cmp_u_f32_e64 s[46:47], v79, v79                         // 000000006430: D048002E 00029F4F
	v_add3_u32 v16, v79, v19, 1                                // 000000006438: D1FF0010 0206274F
	v_cndmask_b32_e64 v5, v16, v18, s[46:47]                   // 000000006440: D1000005 00BA2510
	v_perm_b32 v71, v5, v4, s52                                // 000000006448: D1ED0047 00D20905
	v_cmp_u_f32_e64 s[46:47], v80, v80                         // 000000006450: D048002E 0002A150
	v_add3_u32 v16, v80, v19, 1                                // 000000006458: D1FF0010 02062750
	v_cndmask_b32_e64 v4, v16, v18, s[46:47]                   // 000000006460: D1000004 00BA2510
	v_cmp_u_f32_e64 s[46:47], v81, v81                         // 000000006468: D048002E 0002A351
	v_add3_u32 v16, v81, v19, 1                                // 000000006470: D1FF0010 02062751
	v_cndmask_b32_e64 v5, v16, v18, s[46:47]                   // 000000006478: D1000005 00BA2510
	v_perm_b32 v72, v5, v4, s52                                // 000000006480: D1ED0048 00D20905
	v_cmp_u_f32_e64 s[46:47], v82, v82                         // 000000006488: D048002E 0002A552
	v_add3_u32 v16, v82, v19, 1                                // 000000006490: D1FF0010 02062752
	v_cndmask_b32_e64 v4, v16, v18, s[46:47]                   // 000000006498: D1000004 00BA2510
	v_cmp_u_f32_e64 s[46:47], v83, v83                         // 0000000064A0: D048002E 0002A753
	v_add3_u32 v16, v83, v19, 1                                // 0000000064A8: D1FF0010 02062753
	v_cndmask_b32_e64 v5, v16, v18, s[46:47]                   // 0000000064B0: D1000005 00BA2510
	v_perm_b32 v73, v5, v4, s52                                // 0000000064B8: D1ED0049 00D20905
	v_cmp_u_f32_e64 s[46:47], v84, v84                         // 0000000064C0: D048002E 0002A954
	v_add3_u32 v16, v84, v19, 1                                // 0000000064C8: D1FF0010 02062754
	v_cndmask_b32_e64 v4, v16, v18, s[46:47]                   // 0000000064D0: D1000004 00BA2510
	v_cmp_u_f32_e64 s[46:47], v85, v85                         // 0000000064D8: D048002E 0002AB55
	v_add3_u32 v16, v85, v19, 1                                // 0000000064E0: D1FF0010 02062755
	v_cndmask_b32_e64 v5, v16, v18, s[46:47]                   // 0000000064E8: D1000005 00BA2510
	v_perm_b32 v74, v5, v4, s52                                // 0000000064F0: D1ED004A 00D20905
	v_cmp_u_f32_e64 s[46:47], v86, v86                         // 0000000064F8: D048002E 0002AD56
	v_add3_u32 v16, v86, v19, 1                                // 000000006500: D1FF0010 02062756
	v_cndmask_b32_e64 v4, v16, v18, s[46:47]                   // 000000006508: D1000004 00BA2510
	v_cmp_u_f32_e64 s[46:47], v87, v87                         // 000000006510: D048002E 0002AF57
	v_add3_u32 v16, v87, v19, 1                                // 000000006518: D1FF0010 02062757
	v_cndmask_b32_e64 v5, v16, v18, s[46:47]                   // 000000006520: D1000005 00BA2510
	v_perm_b32 v75, v5, v4, s52                                // 000000006528: D1ED004B 00D20905
	v_cmp_u_f32_e64 s[46:47], v88, v88                         // 000000006530: D048002E 0002B158
	v_add3_u32 v16, v88, v19, 1                                // 000000006538: D1FF0010 02062758
	v_cndmask_b32_e64 v4, v16, v18, s[46:47]                   // 000000006540: D1000004 00BA2510
	v_cmp_u_f32_e64 s[46:47], v89, v89                         // 000000006548: D048002E 0002B359
	v_add3_u32 v16, v89, v19, 1                                // 000000006550: D1FF0010 02062759
	v_cndmask_b32_e64 v5, v16, v18, s[46:47]                   // 000000006558: D1000005 00BA2510
	v_perm_b32 v76, v5, v4, s52                                // 000000006560: D1ED004C 00D20905
	v_cmp_u_f32_e64 s[46:47], v90, v90                         // 000000006568: D048002E 0002B55A
	v_add3_u32 v16, v90, v19, 1                                // 000000006570: D1FF0010 0206275A
	v_cndmask_b32_e64 v4, v16, v18, s[46:47]                   // 000000006578: D1000004 00BA2510
	v_cmp_u_f32_e64 s[46:47], v91, v91                         // 000000006580: D048002E 0002B75B
	v_add3_u32 v16, v91, v19, 1                                // 000000006588: D1FF0010 0206275B
	v_cndmask_b32_e64 v5, v16, v18, s[46:47]                   // 000000006590: D1000005 00BA2510
	v_perm_b32 v77, v5, v4, s52                                // 000000006598: D1ED004D 00D20905
	v_cmp_u_f32_e64 s[46:47], v92, v92                         // 0000000065A0: D048002E 0002B95C
	v_add3_u32 v16, v92, v19, 1                                // 0000000065A8: D1FF0010 0206275C
	v_cndmask_b32_e64 v4, v16, v18, s[46:47]                   // 0000000065B0: D1000004 00BA2510
	v_cmp_u_f32_e64 s[46:47], v93, v93                         // 0000000065B8: D048002E 0002BB5D
	v_add3_u32 v16, v93, v19, 1                                // 0000000065C0: D1FF0010 0206275D
	v_cndmask_b32_e64 v5, v16, v18, s[46:47]                   // 0000000065C8: D1000005 00BA2510
	v_perm_b32 v78, v5, v4, s52                                // 0000000065D0: D1ED004E 00D20905
	v_cmp_u_f32_e64 s[46:47], v94, v94                         // 0000000065D8: D048002E 0002BD5E
	v_add3_u32 v16, v94, v19, 1                                // 0000000065E0: D1FF0010 0206275E
	v_cndmask_b32_e64 v4, v16, v18, s[46:47]                   // 0000000065E8: D1000004 00BA2510
	v_cmp_u_f32_e64 s[46:47], v95, v95                         // 0000000065F0: D048002E 0002BF5F
	v_add3_u32 v16, v95, v19, 1                                // 0000000065F8: D1FF0010 0206275F
	v_cndmask_b32_e64 v5, v16, v18, s[46:47]                   // 000000006600: D1000005 00BA2510
	v_perm_b32 v79, v5, v4, s52                                // 000000006608: D1ED004F 00D20905
	v_cmp_u_f32_e64 s[46:47], v96, v96                         // 000000006610: D048002E 0002C160
	v_add3_u32 v16, v96, v19, 1                                // 000000006618: D1FF0010 02062760
	v_cndmask_b32_e64 v4, v16, v18, s[46:47]                   // 000000006620: D1000004 00BA2510
	v_cmp_u_f32_e64 s[46:47], v97, v97                         // 000000006628: D048002E 0002C361
	v_add3_u32 v16, v97, v19, 1                                // 000000006630: D1FF0010 02062761
	v_cndmask_b32_e64 v5, v16, v18, s[46:47]                   // 000000006638: D1000005 00BA2510
	v_perm_b32 v80, v5, v4, s52                                // 000000006640: D1ED0050 00D20905
	v_cmp_u_f32_e64 s[46:47], v98, v98                         // 000000006648: D048002E 0002C562
	v_add3_u32 v16, v98, v19, 1                                // 000000006650: D1FF0010 02062762
	v_cndmask_b32_e64 v4, v16, v18, s[46:47]                   // 000000006658: D1000004 00BA2510
	v_cmp_u_f32_e64 s[46:47], v99, v99                         // 000000006660: D048002E 0002C763
	v_add3_u32 v16, v99, v19, 1                                // 000000006668: D1FF0010 02062763
	v_cndmask_b32_e64 v5, v16, v18, s[46:47]                   // 000000006670: D1000005 00BA2510
	v_perm_b32 v81, v5, v4, s52                                // 000000006678: D1ED0051 00D20905
	v_cmp_u_f32_e64 s[46:47], v100, v100                       // 000000006680: D048002E 0002C964
	v_add3_u32 v16, v100, v19, 1                               // 000000006688: D1FF0010 02062764
	v_cndmask_b32_e64 v4, v16, v18, s[46:47]                   // 000000006690: D1000004 00BA2510
	v_cmp_u_f32_e64 s[46:47], v101, v101                       // 000000006698: D048002E 0002CB65
	v_add3_u32 v16, v101, v19, 1                               // 0000000066A0: D1FF0010 02062765
	v_cndmask_b32_e64 v5, v16, v18, s[46:47]                   // 0000000066A8: D1000005 00BA2510
	v_perm_b32 v82, v5, v4, s52                                // 0000000066B0: D1ED0052 00D20905
	v_cmp_u_f32_e64 s[46:47], v102, v102                       // 0000000066B8: D048002E 0002CD66
	v_add3_u32 v16, v102, v19, 1                               // 0000000066C0: D1FF0010 02062766
	v_cndmask_b32_e64 v4, v16, v18, s[46:47]                   // 0000000066C8: D1000004 00BA2510
	v_cmp_u_f32_e64 s[46:47], v103, v103                       // 0000000066D0: D048002E 0002CF67
	v_add3_u32 v16, v103, v19, 1                               // 0000000066D8: D1FF0010 02062767
	v_cndmask_b32_e64 v5, v16, v18, s[46:47]                   // 0000000066E0: D1000005 00BA2510
	v_perm_b32 v83, v5, v4, s52                                // 0000000066E8: D1ED0053 00D20905
	v_cmp_u_f32_e64 s[46:47], v104, v104                       // 0000000066F0: D048002E 0002D168
	v_add3_u32 v16, v104, v19, 1                               // 0000000066F8: D1FF0010 02062768
	v_cndmask_b32_e64 v4, v16, v18, s[46:47]                   // 000000006700: D1000004 00BA2510
	v_cmp_u_f32_e64 s[46:47], v105, v105                       // 000000006708: D048002E 0002D369
	v_add3_u32 v16, v105, v19, 1                               // 000000006710: D1FF0010 02062769
	v_cndmask_b32_e64 v5, v16, v18, s[46:47]                   // 000000006718: D1000005 00BA2510
	v_perm_b32 v84, v5, v4, s52                                // 000000006720: D1ED0054 00D20905
	v_cmp_u_f32_e64 s[46:47], v106, v106                       // 000000006728: D048002E 0002D56A
	v_add3_u32 v16, v106, v19, 1                               // 000000006730: D1FF0010 0206276A
	v_cndmask_b32_e64 v4, v16, v18, s[46:47]                   // 000000006738: D1000004 00BA2510
	v_cmp_u_f32_e64 s[46:47], v107, v107                       // 000000006740: D048002E 0002D76B
	v_add3_u32 v16, v107, v19, 1                               // 000000006748: D1FF0010 0206276B
	v_cndmask_b32_e64 v5, v16, v18, s[46:47]                   // 000000006750: D1000005 00BA2510
	v_perm_b32 v85, v5, v4, s52                                // 000000006758: D1ED0055 00D20905
	v_cmp_u_f32_e64 s[46:47], v108, v108                       // 000000006760: D048002E 0002D96C
	v_add3_u32 v16, v108, v19, 1                               // 000000006768: D1FF0010 0206276C
	v_cndmask_b32_e64 v4, v16, v18, s[46:47]                   // 000000006770: D1000004 00BA2510
	v_cmp_u_f32_e64 s[46:47], v109, v109                       // 000000006778: D048002E 0002DB6D
	v_add3_u32 v16, v109, v19, 1                               // 000000006780: D1FF0010 0206276D
	v_cndmask_b32_e64 v5, v16, v18, s[46:47]                   // 000000006788: D1000005 00BA2510
	v_perm_b32 v86, v5, v4, s52                                // 000000006790: D1ED0056 00D20905
	v_cmp_u_f32_e64 s[46:47], v110, v110                       // 000000006798: D048002E 0002DD6E
	v_add3_u32 v16, v110, v19, 1                               // 0000000067A0: D1FF0010 0206276E
	v_cndmask_b32_e64 v4, v16, v18, s[46:47]                   // 0000000067A8: D1000004 00BA2510
	v_cmp_u_f32_e64 s[46:47], v111, v111                       // 0000000067B0: D048002E 0002DF6F
	v_add3_u32 v16, v111, v19, 1                               // 0000000067B8: D1FF0010 0206276F
	v_cndmask_b32_e64 v5, v16, v18, s[46:47]                   // 0000000067C0: D1000005 00BA2510
	v_perm_b32 v87, v5, v4, s52                                // 0000000067C8: D1ED0057 00D20905
	v_cmp_u_f32_e64 s[46:47], v112, v112                       // 0000000067D0: D048002E 0002E170
	v_add3_u32 v16, v112, v19, 1                               // 0000000067D8: D1FF0010 02062770
	v_cndmask_b32_e64 v4, v16, v18, s[46:47]                   // 0000000067E0: D1000004 00BA2510
	v_cmp_u_f32_e64 s[46:47], v113, v113                       // 0000000067E8: D048002E 0002E371
	v_add3_u32 v16, v113, v19, 1                               // 0000000067F0: D1FF0010 02062771
	v_cndmask_b32_e64 v5, v16, v18, s[46:47]                   // 0000000067F8: D1000005 00BA2510
	v_perm_b32 v88, v5, v4, s52                                // 000000006800: D1ED0058 00D20905
	v_cmp_u_f32_e64 s[46:47], v114, v114                       // 000000006808: D048002E 0002E572
	v_add3_u32 v16, v114, v19, 1                               // 000000006810: D1FF0010 02062772
	v_cndmask_b32_e64 v4, v16, v18, s[46:47]                   // 000000006818: D1000004 00BA2510
	v_cmp_u_f32_e64 s[46:47], v115, v115                       // 000000006820: D048002E 0002E773
	v_add3_u32 v16, v115, v19, 1                               // 000000006828: D1FF0010 02062773
	v_cndmask_b32_e64 v5, v16, v18, s[46:47]                   // 000000006830: D1000005 00BA2510
	v_perm_b32 v89, v5, v4, s52                                // 000000006838: D1ED0059 00D20905
	v_cmp_u_f32_e64 s[46:47], v116, v116                       // 000000006840: D048002E 0002E974
	v_add3_u32 v16, v116, v19, 1                               // 000000006848: D1FF0010 02062774
	v_cndmask_b32_e64 v4, v16, v18, s[46:47]                   // 000000006850: D1000004 00BA2510
	v_cmp_u_f32_e64 s[46:47], v117, v117                       // 000000006858: D048002E 0002EB75
	v_add3_u32 v16, v117, v19, 1                               // 000000006860: D1FF0010 02062775
	v_cndmask_b32_e64 v5, v16, v18, s[46:47]                   // 000000006868: D1000005 00BA2510
	v_perm_b32 v90, v5, v4, s52                                // 000000006870: D1ED005A 00D20905
	v_cmp_u_f32_e64 s[46:47], v118, v118                       // 000000006878: D048002E 0002ED76
	v_add3_u32 v16, v118, v19, 1                               // 000000006880: D1FF0010 02062776
	v_cndmask_b32_e64 v4, v16, v18, s[46:47]                   // 000000006888: D1000004 00BA2510
	v_cmp_u_f32_e64 s[46:47], v119, v119                       // 000000006890: D048002E 0002EF77
	v_add3_u32 v16, v119, v19, 1                               // 000000006898: D1FF0010 02062777
	v_cndmask_b32_e64 v5, v16, v18, s[46:47]                   // 0000000068A0: D1000005 00BA2510
	v_perm_b32 v91, v5, v4, s52                                // 0000000068A8: D1ED005B 00D20905
	v_cmp_u_f32_e64 s[46:47], v120, v120                       // 0000000068B0: D048002E 0002F178
	v_add3_u32 v16, v120, v19, 1                               // 0000000068B8: D1FF0010 02062778
	v_cndmask_b32_e64 v4, v16, v18, s[46:47]                   // 0000000068C0: D1000004 00BA2510
	v_cmp_u_f32_e64 s[46:47], v121, v121                       // 0000000068C8: D048002E 0002F379
	v_add3_u32 v16, v121, v19, 1                               // 0000000068D0: D1FF0010 02062779
	v_cndmask_b32_e64 v5, v16, v18, s[46:47]                   // 0000000068D8: D1000005 00BA2510
	v_perm_b32 v92, v5, v4, s52                                // 0000000068E0: D1ED005C 00D20905
	v_cmp_u_f32_e64 s[46:47], v122, v122                       // 0000000068E8: D048002E 0002F57A
	v_add3_u32 v16, v122, v19, 1                               // 0000000068F0: D1FF0010 0206277A
	v_cndmask_b32_e64 v4, v16, v18, s[46:47]                   // 0000000068F8: D1000004 00BA2510
	v_cmp_u_f32_e64 s[46:47], v123, v123                       // 000000006900: D048002E 0002F77B
	v_add3_u32 v16, v123, v19, 1                               // 000000006908: D1FF0010 0206277B
	v_cndmask_b32_e64 v5, v16, v18, s[46:47]                   // 000000006910: D1000005 00BA2510
	v_perm_b32 v93, v5, v4, s52                                // 000000006918: D1ED005D 00D20905
	v_cmp_u_f32_e64 s[46:47], v124, v124                       // 000000006920: D048002E 0002F97C
	v_add3_u32 v16, v124, v19, 1                               // 000000006928: D1FF0010 0206277C
	v_cndmask_b32_e64 v4, v16, v18, s[46:47]                   // 000000006930: D1000004 00BA2510
	v_cmp_u_f32_e64 s[46:47], v125, v125                       // 000000006938: D048002E 0002FB7D
	v_add3_u32 v16, v125, v19, 1                               // 000000006940: D1FF0010 0206277D
	v_cndmask_b32_e64 v5, v16, v18, s[46:47]                   // 000000006948: D1000005 00BA2510
	v_perm_b32 v94, v5, v4, s52                                // 000000006950: D1ED005E 00D20905
	v_cmp_u_f32_e64 s[46:47], v126, v126                       // 000000006958: D048002E 0002FD7E
	v_add3_u32 v16, v126, v19, 1                               // 000000006960: D1FF0010 0206277E
	v_cndmask_b32_e64 v4, v16, v18, s[46:47]                   // 000000006968: D1000004 00BA2510
	v_cmp_u_f32_e64 s[46:47], v127, v127                       // 000000006970: D048002E 0002FF7F
	v_add3_u32 v16, v127, v19, 1                               // 000000006978: D1FF0010 0206277F
	v_cndmask_b32_e64 v5, v16, v18, s[46:47]                   // 000000006980: D1000005 00BA2510
	v_perm_b32 v95, v5, v4, s52                                // 000000006988: D1ED005F 00D20905
	v_cmp_u_f32_e64 s[46:47], v128, v128                       // 000000006990: D048002E 00030180
	v_add3_u32 v16, v128, v19, 1                               // 000000006998: D1FF0010 02062780
	v_cndmask_b32_e64 v4, v16, v18, s[46:47]                   // 0000000069A0: D1000004 00BA2510
	v_cmp_u_f32_e64 s[46:47], v129, v129                       // 0000000069A8: D048002E 00030381
	v_add3_u32 v16, v129, v19, 1                               // 0000000069B0: D1FF0010 02062781
	v_cndmask_b32_e64 v5, v16, v18, s[46:47]                   // 0000000069B8: D1000005 00BA2510
	v_perm_b32 v96, v5, v4, s52                                // 0000000069C0: D1ED0060 00D20905
	v_cmp_u_f32_e64 s[46:47], v130, v130                       // 0000000069C8: D048002E 00030582
	v_add3_u32 v16, v130, v19, 1                               // 0000000069D0: D1FF0010 02062782
	v_cndmask_b32_e64 v4, v16, v18, s[46:47]                   // 0000000069D8: D1000004 00BA2510
	v_cmp_u_f32_e64 s[46:47], v131, v131                       // 0000000069E0: D048002E 00030783
	v_add3_u32 v16, v131, v19, 1                               // 0000000069E8: D1FF0010 02062783
	v_cndmask_b32_e64 v5, v16, v18, s[46:47]                   // 0000000069F0: D1000005 00BA2510
	v_perm_b32 v97, v5, v4, s52                                // 0000000069F8: D1ED0061 00D20905
	v_cmp_u_f32_e64 s[46:47], v132, v132                       // 000000006A00: D048002E 00030984
	v_add3_u32 v16, v132, v19, 1                               // 000000006A08: D1FF0010 02062784
	v_cndmask_b32_e64 v4, v16, v18, s[46:47]                   // 000000006A10: D1000004 00BA2510
	v_cmp_u_f32_e64 s[46:47], v133, v133                       // 000000006A18: D048002E 00030B85
	v_add3_u32 v16, v133, v19, 1                               // 000000006A20: D1FF0010 02062785
	v_cndmask_b32_e64 v5, v16, v18, s[46:47]                   // 000000006A28: D1000005 00BA2510
	v_perm_b32 v98, v5, v4, s52                                // 000000006A30: D1ED0062 00D20905
	v_cmp_u_f32_e64 s[46:47], v134, v134                       // 000000006A38: D048002E 00030D86
	v_add3_u32 v16, v134, v19, 1                               // 000000006A40: D1FF0010 02062786
	v_cndmask_b32_e64 v4, v16, v18, s[46:47]                   // 000000006A48: D1000004 00BA2510
	v_cmp_u_f32_e64 s[46:47], v135, v135                       // 000000006A50: D048002E 00030F87
	v_add3_u32 v16, v135, v19, 1                               // 000000006A58: D1FF0010 02062787
	v_cndmask_b32_e64 v5, v16, v18, s[46:47]                   // 000000006A60: D1000005 00BA2510
	v_perm_b32 v99, v5, v4, s52                                // 000000006A68: D1ED0063 00D20905
	v_cmp_u_f32_e64 s[46:47], v136, v136                       // 000000006A70: D048002E 00031188
	v_add3_u32 v16, v136, v19, 1                               // 000000006A78: D1FF0010 02062788
	v_cndmask_b32_e64 v4, v16, v18, s[46:47]                   // 000000006A80: D1000004 00BA2510
	v_cmp_u_f32_e64 s[46:47], v137, v137                       // 000000006A88: D048002E 00031389
	v_add3_u32 v16, v137, v19, 1                               // 000000006A90: D1FF0010 02062789
	v_cndmask_b32_e64 v5, v16, v18, s[46:47]                   // 000000006A98: D1000005 00BA2510
	v_perm_b32 v100, v5, v4, s52                               // 000000006AA0: D1ED0064 00D20905
	v_cmp_u_f32_e64 s[46:47], v138, v138                       // 000000006AA8: D048002E 0003158A
	v_add3_u32 v16, v138, v19, 1                               // 000000006AB0: D1FF0010 0206278A
	v_cndmask_b32_e64 v4, v16, v18, s[46:47]                   // 000000006AB8: D1000004 00BA2510
	v_cmp_u_f32_e64 s[46:47], v139, v139                       // 000000006AC0: D048002E 0003178B
	v_add3_u32 v16, v139, v19, 1                               // 000000006AC8: D1FF0010 0206278B
	v_cndmask_b32_e64 v5, v16, v18, s[46:47]                   // 000000006AD0: D1000005 00BA2510
	v_perm_b32 v101, v5, v4, s52                               // 000000006AD8: D1ED0065 00D20905
	v_cmp_u_f32_e64 s[46:47], v140, v140                       // 000000006AE0: D048002E 0003198C
	v_add3_u32 v16, v140, v19, 1                               // 000000006AE8: D1FF0010 0206278C
	v_cndmask_b32_e64 v4, v16, v18, s[46:47]                   // 000000006AF0: D1000004 00BA2510
	v_cmp_u_f32_e64 s[46:47], v141, v141                       // 000000006AF8: D048002E 00031B8D
	v_add3_u32 v16, v141, v19, 1                               // 000000006B00: D1FF0010 0206278D
	v_cndmask_b32_e64 v5, v16, v18, s[46:47]                   // 000000006B08: D1000005 00BA2510
	v_perm_b32 v102, v5, v4, s52                               // 000000006B10: D1ED0066 00D20905
	v_cmp_u_f32_e64 s[46:47], v142, v142                       // 000000006B18: D048002E 00031D8E
	v_add3_u32 v16, v142, v19, 1                               // 000000006B20: D1FF0010 0206278E
	v_cndmask_b32_e64 v4, v16, v18, s[46:47]                   // 000000006B28: D1000004 00BA2510
	v_cmp_u_f32_e64 s[46:47], v143, v143                       // 000000006B30: D048002E 00031F8F
	v_add3_u32 v16, v143, v19, 1                               // 000000006B38: D1FF0010 0206278F
	v_cndmask_b32_e64 v5, v16, v18, s[46:47]                   // 000000006B40: D1000005 00BA2510
	v_perm_b32 v103, v5, v4, s52                               // 000000006B48: D1ED0067 00D20905
	ds_write_b64 v20, v[64:65]                                 // 000000006B50: D89A0000 00004014
	ds_write_b64 v20, v[66:67] offset:8704                     // 000000006B58: D89A2200 00004214
	ds_write_b64 v20, v[68:69] offset:17408                    // 000000006B60: D89A4400 00004414
	ds_write_b64 v20, v[70:71] offset:26112                    // 000000006B68: D89A6600 00004614
	ds_write_b64 v20, v[72:73] offset:34816                    // 000000006B70: D89A8800 00004814
	ds_write_b64 v20, v[74:75] offset:2176                     // 000000006B78: D89A0880 00004A14
	ds_write_b64 v20, v[76:77] offset:10880                    // 000000006B80: D89A2A80 00004C14
	ds_write_b64 v20, v[78:79] offset:19584                    // 000000006B88: D89A4C80 00004E14
	ds_write_b64 v20, v[80:81] offset:28288                    // 000000006B90: D89A6E80 00005014
	ds_write_b64 v20, v[82:83] offset:36992                    // 000000006B98: D89A9080 00005214
	ds_write_b64 v20, v[84:85] offset:4352                     // 000000006BA0: D89A1100 00005414
	ds_write_b64 v20, v[86:87] offset:13056                    // 000000006BA8: D89A3300 00005614
	ds_write_b64 v20, v[88:89] offset:21760                    // 000000006BB0: D89A5500 00005814
	ds_write_b64 v20, v[90:91] offset:30464                    // 000000006BB8: D89A7700 00005A14
	ds_write_b64 v20, v[92:93] offset:39168                    // 000000006BC0: D89A9900 00005C14
	ds_write_b64 v20, v[94:95] offset:6528                     // 000000006BC8: D89A1980 00005E14
	ds_write_b64 v20, v[96:97] offset:15232                    // 000000006BD0: D89A3B80 00006014
	ds_write_b64 v20, v[98:99] offset:23936                    // 000000006BD8: D89A5D80 00006214
	ds_write_b64 v20, v[100:101] offset:32640                  // 000000006BE0: D89A7F80 00006414
	ds_write_b64 v20, v[102:103] offset:41344                  // 000000006BE8: D89AA180 00006614
	v_lshrrev_b32_e32 v4, 5, v0                                // 000000006BF0: 20080085
	v_xor_b32_e32 v5, 1, v4                                    // 000000006BF4: 2A0A0881
	s_mul_i32 s60, s65, 2                                      // 000000006BF8: 923C8241
	s_cmp_eq_u32 s88, 0                                        // 000000006BFC: BF068058
	s_cselect_b32 s61, 1, 4                                    // 000000006C00: 853D8481
	s_mul_i32 s60, s61, s60                                    // 000000006C04: 923C3C3D
	v_readlane_b32 s82, v3, 0                                  // 000000006C08: D2890052 00010103
	s_lshr_b32 s61, s82, 24                                    // 000000006C10: 8F3D9852
	s_and_b32 s82, s82, 0xffffff                               // 000000006C14: 8652FF52 00FFFFFF
	s_mul_i32 s82, s82, s71                                    // 000000006C1C: 92524752
	s_mul_i32 s61, s60, s61                                    // 000000006C20: 923D3D3C
	s_add_u32 s82, s82, s61                                    // 000000006C24: 80523D52
	v_mul_lo_u32 v6, v5, s82                                   // 000000006C28: D2850006 0000A505
	v_readlane_b32 s82, v3, 1                                  // 000000006C30: D2890052 00010303
	s_lshr_b32 s61, s82, 24                                    // 000000006C38: 8F3D9852
	s_and_b32 s82, s82, 0xffffff                               // 000000006C3C: 8652FF52 00FFFFFF
	s_mul_i32 s82, s82, s71                                    // 000000006C44: 92524752
	s_mul_i32 s61, s60, s61                                    // 000000006C48: 923D3D3C
	s_add_u32 s82, s82, s61                                    // 000000006C4C: 80523D52
	v_mul_lo_u32 v7, v4, s82                                   // 000000006C50: D2850007 0000A504
	v_add_u32_e32 v48, v6, v7                                  // 000000006C58: 68600F06
	v_readlane_b32 s82, v3, 2                                  // 000000006C5C: D2890052 00010503
	s_lshr_b32 s61, s82, 24                                    // 000000006C64: 8F3D9852
	s_and_b32 s82, s82, 0xffffff                               // 000000006C68: 8652FF52 00FFFFFF
	s_mul_i32 s82, s82, s71                                    // 000000006C70: 92524752
	s_mul_i32 s61, s60, s61                                    // 000000006C74: 923D3D3C
	s_add_u32 s82, s82, s61                                    // 000000006C78: 80523D52
	v_mul_lo_u32 v6, v5, s82                                   // 000000006C7C: D2850006 0000A505
	v_readlane_b32 s82, v3, 3                                  // 000000006C84: D2890052 00010703
	s_lshr_b32 s61, s82, 24                                    // 000000006C8C: 8F3D9852
	s_and_b32 s82, s82, 0xffffff                               // 000000006C90: 8652FF52 00FFFFFF
	s_mul_i32 s82, s82, s71                                    // 000000006C98: 92524752
	s_mul_i32 s61, s60, s61                                    // 000000006C9C: 923D3D3C
	s_add_u32 s82, s82, s61                                    // 000000006CA0: 80523D52
	v_mul_lo_u32 v7, v4, s82                                   // 000000006CA4: D2850007 0000A504
	v_add_u32_e32 v49, v6, v7                                  // 000000006CAC: 68620F06
	v_readlane_b32 s82, v3, 4                                  // 000000006CB0: D2890052 00010903
	s_lshr_b32 s61, s82, 24                                    // 000000006CB8: 8F3D9852
	s_and_b32 s82, s82, 0xffffff                               // 000000006CBC: 8652FF52 00FFFFFF
	s_mul_i32 s82, s82, s71                                    // 000000006CC4: 92524752
	s_mul_i32 s61, s60, s61                                    // 000000006CC8: 923D3D3C
	s_add_u32 s82, s82, s61                                    // 000000006CCC: 80523D52
	v_mul_lo_u32 v6, v5, s82                                   // 000000006CD0: D2850006 0000A505
	v_readlane_b32 s82, v3, 5                                  // 000000006CD8: D2890052 00010B03
	s_lshr_b32 s61, s82, 24                                    // 000000006CE0: 8F3D9852
	s_and_b32 s82, s82, 0xffffff                               // 000000006CE4: 8652FF52 00FFFFFF
	s_mul_i32 s82, s82, s71                                    // 000000006CEC: 92524752
	s_mul_i32 s61, s60, s61                                    // 000000006CF0: 923D3D3C
	s_add_u32 s82, s82, s61                                    // 000000006CF4: 80523D52
	v_mul_lo_u32 v7, v4, s82                                   // 000000006CF8: D2850007 0000A504
	v_add_u32_e32 v50, v6, v7                                  // 000000006D00: 68640F06
	v_readlane_b32 s82, v3, 6                                  // 000000006D04: D2890052 00010D03
	s_lshr_b32 s61, s82, 24                                    // 000000006D0C: 8F3D9852
	s_and_b32 s82, s82, 0xffffff                               // 000000006D10: 8652FF52 00FFFFFF
	s_mul_i32 s82, s82, s71                                    // 000000006D18: 92524752
	s_mul_i32 s61, s60, s61                                    // 000000006D1C: 923D3D3C
	s_add_u32 s82, s82, s61                                    // 000000006D20: 80523D52
	v_mul_lo_u32 v6, v5, s82                                   // 000000006D24: D2850006 0000A505
	v_readlane_b32 s82, v3, 7                                  // 000000006D2C: D2890052 00010F03
	s_lshr_b32 s61, s82, 24                                    // 000000006D34: 8F3D9852
	s_and_b32 s82, s82, 0xffffff                               // 000000006D38: 8652FF52 00FFFFFF
	s_mul_i32 s82, s82, s71                                    // 000000006D40: 92524752
	s_mul_i32 s61, s60, s61                                    // 000000006D44: 923D3D3C
	s_add_u32 s82, s82, s61                                    // 000000006D48: 80523D52
	v_mul_lo_u32 v7, v4, s82                                   // 000000006D4C: D2850007 0000A504
	v_add_u32_e32 v51, v6, v7                                  // 000000006D54: 68660F06
	v_readlane_b32 s82, v3, 8                                  // 000000006D58: D2890052 00011103
	s_lshr_b32 s61, s82, 24                                    // 000000006D60: 8F3D9852
	s_and_b32 s82, s82, 0xffffff                               // 000000006D64: 8652FF52 00FFFFFF
	s_mul_i32 s82, s82, s71                                    // 000000006D6C: 92524752
	s_mul_i32 s61, s60, s61                                    // 000000006D70: 923D3D3C
	s_add_u32 s82, s82, s61                                    // 000000006D74: 80523D52
	v_mul_lo_u32 v6, v5, s82                                   // 000000006D78: D2850006 0000A505
	v_readlane_b32 s82, v3, 9                                  // 000000006D80: D2890052 00011303
	s_lshr_b32 s61, s82, 24                                    // 000000006D88: 8F3D9852
	s_and_b32 s82, s82, 0xffffff                               // 000000006D8C: 8652FF52 00FFFFFF
	s_mul_i32 s82, s82, s71                                    // 000000006D94: 92524752
	s_mul_i32 s61, s60, s61                                    // 000000006D98: 923D3D3C
	s_add_u32 s82, s82, s61                                    // 000000006D9C: 80523D52
	v_mul_lo_u32 v7, v4, s82                                   // 000000006DA0: D2850007 0000A504
	v_add_u32_e32 v52, v6, v7                                  // 000000006DA8: 68680F06
	v_readlane_b32 s82, v3, 10                                 // 000000006DAC: D2890052 00011503
	s_lshr_b32 s61, s82, 24                                    // 000000006DB4: 8F3D9852
	s_and_b32 s82, s82, 0xffffff                               // 000000006DB8: 8652FF52 00FFFFFF
	s_mul_i32 s82, s82, s71                                    // 000000006DC0: 92524752
	s_mul_i32 s61, s60, s61                                    // 000000006DC4: 923D3D3C
	s_add_u32 s82, s82, s61                                    // 000000006DC8: 80523D52
	v_mul_lo_u32 v6, v5, s82                                   // 000000006DCC: D2850006 0000A505
	v_readlane_b32 s82, v3, 11                                 // 000000006DD4: D2890052 00011703
	s_lshr_b32 s61, s82, 24                                    // 000000006DDC: 8F3D9852
	s_and_b32 s82, s82, 0xffffff                               // 000000006DE0: 8652FF52 00FFFFFF
	s_mul_i32 s82, s82, s71                                    // 000000006DE8: 92524752
	s_mul_i32 s61, s60, s61                                    // 000000006DEC: 923D3D3C
	s_add_u32 s82, s82, s61                                    // 000000006DF0: 80523D52
	v_mul_lo_u32 v7, v4, s82                                   // 000000006DF4: D2850007 0000A504
	v_add_u32_e32 v53, v6, v7                                  // 000000006DFC: 686A0F06
	v_readlane_b32 s82, v3, 12                                 // 000000006E00: D2890052 00011903
	s_lshr_b32 s61, s82, 24                                    // 000000006E08: 8F3D9852
	s_and_b32 s82, s82, 0xffffff                               // 000000006E0C: 8652FF52 00FFFFFF
	s_mul_i32 s82, s82, s71                                    // 000000006E14: 92524752
	s_mul_i32 s61, s60, s61                                    // 000000006E18: 923D3D3C
	s_add_u32 s82, s82, s61                                    // 000000006E1C: 80523D52
	v_mul_lo_u32 v6, v5, s82                                   // 000000006E20: D2850006 0000A505
	v_readlane_b32 s82, v3, 13                                 // 000000006E28: D2890052 00011B03
	s_lshr_b32 s61, s82, 24                                    // 000000006E30: 8F3D9852
	s_and_b32 s82, s82, 0xffffff                               // 000000006E34: 8652FF52 00FFFFFF
	s_mul_i32 s82, s82, s71                                    // 000000006E3C: 92524752
	s_mul_i32 s61, s60, s61                                    // 000000006E40: 923D3D3C
	s_add_u32 s82, s82, s61                                    // 000000006E44: 80523D52
	v_mul_lo_u32 v7, v4, s82                                   // 000000006E48: D2850007 0000A504
	v_add_u32_e32 v54, v6, v7                                  // 000000006E50: 686C0F06
	v_readlane_b32 s82, v3, 14                                 // 000000006E54: D2890052 00011D03
	s_lshr_b32 s61, s82, 24                                    // 000000006E5C: 8F3D9852
	s_and_b32 s82, s82, 0xffffff                               // 000000006E60: 8652FF52 00FFFFFF
	s_mul_i32 s82, s82, s71                                    // 000000006E68: 92524752
	s_mul_i32 s61, s60, s61                                    // 000000006E6C: 923D3D3C
	s_add_u32 s82, s82, s61                                    // 000000006E70: 80523D52
	v_mul_lo_u32 v6, v5, s82                                   // 000000006E74: D2850006 0000A505
	v_readlane_b32 s82, v3, 15                                 // 000000006E7C: D2890052 00011F03
	s_lshr_b32 s61, s82, 24                                    // 000000006E84: 8F3D9852
	s_and_b32 s82, s82, 0xffffff                               // 000000006E88: 8652FF52 00FFFFFF
	s_mul_i32 s82, s82, s71                                    // 000000006E90: 92524752
	s_mul_i32 s61, s60, s61                                    // 000000006E94: 923D3D3C
	s_add_u32 s82, s82, s61                                    // 000000006E98: 80523D52
	v_mul_lo_u32 v7, v4, s82                                   // 000000006E9C: D2850007 0000A504
	v_add_u32_e32 v55, v6, v7                                  // 000000006EA4: 686E0F06
	v_readlane_b32 s82, v3, 16                                 // 000000006EA8: D2890052 00012103
	s_lshr_b32 s61, s82, 24                                    // 000000006EB0: 8F3D9852
	s_and_b32 s82, s82, 0xffffff                               // 000000006EB4: 8652FF52 00FFFFFF
	s_mul_i32 s82, s82, s71                                    // 000000006EBC: 92524752
	s_mul_i32 s61, s60, s61                                    // 000000006EC0: 923D3D3C
	s_add_u32 s82, s82, s61                                    // 000000006EC4: 80523D52
	v_mul_lo_u32 v6, v5, s82                                   // 000000006EC8: D2850006 0000A505
	v_readlane_b32 s82, v3, 17                                 // 000000006ED0: D2890052 00012303
	s_lshr_b32 s61, s82, 24                                    // 000000006ED8: 8F3D9852
	s_and_b32 s82, s82, 0xffffff                               // 000000006EDC: 8652FF52 00FFFFFF
	s_mul_i32 s82, s82, s71                                    // 000000006EE4: 92524752
	s_mul_i32 s61, s60, s61                                    // 000000006EE8: 923D3D3C
	s_add_u32 s82, s82, s61                                    // 000000006EEC: 80523D52
	v_mul_lo_u32 v7, v4, s82                                   // 000000006EF0: D2850007 0000A504
	v_add_u32_e32 v56, v6, v7                                  // 000000006EF8: 68700F06
	v_readlane_b32 s82, v3, 18                                 // 000000006EFC: D2890052 00012503
	s_lshr_b32 s61, s82, 24                                    // 000000006F04: 8F3D9852
	s_and_b32 s82, s82, 0xffffff                               // 000000006F08: 8652FF52 00FFFFFF
	s_mul_i32 s82, s82, s71                                    // 000000006F10: 92524752
	s_mul_i32 s61, s60, s61                                    // 000000006F14: 923D3D3C
	s_add_u32 s82, s82, s61                                    // 000000006F18: 80523D52
	v_mul_lo_u32 v6, v5, s82                                   // 000000006F1C: D2850006 0000A505
	v_readlane_b32 s82, v3, 19                                 // 000000006F24: D2890052 00012703
	s_lshr_b32 s61, s82, 24                                    // 000000006F2C: 8F3D9852
	s_and_b32 s82, s82, 0xffffff                               // 000000006F30: 8652FF52 00FFFFFF
	s_mul_i32 s82, s82, s71                                    // 000000006F38: 92524752
	s_mul_i32 s61, s60, s61                                    // 000000006F3C: 923D3D3C
	s_add_u32 s82, s82, s61                                    // 000000006F40: 80523D52
	v_mul_lo_u32 v7, v4, s82                                   // 000000006F44: D2850007 0000A504
	v_add_u32_e32 v57, v6, v7                                  // 000000006F4C: 68720F06
	v_and_b32_e32 v4, 31, v0                                   // 000000006F50: 2608009F
	v_lshrrev_b32_e32 v4, 1, v4                                // 000000006F54: 20080881
	s_cmp_eq_u32 s88, 0                                        // 000000006F58: BF068058
	s_cselect_b32 s61, 2, 4                                    // 000000006F5C: 853D8482
	v_mul_lo_u32 v4, v4, s61                                   // 000000006F60: D2850004 00007B04
	v_and_b32_e64 v5, v0, 1                                    // 000000006F68: D1130005 00010300
	v_add_u32_e32 v4, v4, v5                                   // 000000006F70: 68080B04
	v_lshlrev_b32_e32 v4, 2, v4                                // 000000006F74: 24080882
	v_add_u32_e32 v48, v48, v4                                 // 000000006F78: 68600930
	v_add_u32_e32 v49, v49, v4                                 // 000000006F7C: 68620931
	v_add_u32_e32 v50, v50, v4                                 // 000000006F80: 68640932
	v_add_u32_e32 v51, v51, v4                                 // 000000006F84: 68660933
	v_add_u32_e32 v52, v52, v4                                 // 000000006F88: 68680934
	v_add_u32_e32 v53, v53, v4                                 // 000000006F8C: 686A0935
	v_add_u32_e32 v54, v54, v4                                 // 000000006F90: 686C0936
	v_add_u32_e32 v55, v55, v4                                 // 000000006F94: 686E0937
	v_add_u32_e32 v56, v56, v4                                 // 000000006F98: 68700938
	v_add_u32_e32 v57, v57, v4                                 // 000000006F9C: 68720939
	s_waitcnt lgkmcnt(0)                                       // 000000006FA0: BF8CC07F
	s_barrier                                                  // 000000006FA4: BF8A0000
	ds_read_b32 v64, v21                                       // 000000006FA8: D86C0000 40000015
	ds_read_b32 v65, v21 offset:64                             // 000000006FB0: D86C0040 41000015
	ds_read_b32 v66, v21 offset:2176                           // 000000006FB8: D86C0880 42000015
	ds_read_b32 v67, v21 offset:2240                           // 000000006FC0: D86C08C0 43000015
	ds_read_b32 v68, v21 offset:4352                           // 000000006FC8: D86C1100 44000015
	ds_read_b32 v69, v21 offset:4416                           // 000000006FD0: D86C1140 45000015
	ds_read_b32 v70, v21 offset:6528                           // 000000006FD8: D86C1980 46000015
	ds_read_b32 v71, v21 offset:6592                           // 000000006FE0: D86C19C0 47000015
	ds_read_b32 v72, v21 offset:8704                           // 000000006FE8: D86C2200 48000015
	ds_read_b32 v73, v21 offset:8768                           // 000000006FF0: D86C2240 49000015
	ds_read_b32 v74, v21 offset:10880                          // 000000006FF8: D86C2A80 4A000015
	ds_read_b32 v75, v21 offset:10944                          // 000000007000: D86C2AC0 4B000015
	ds_read_b32 v76, v21 offset:13056                          // 000000007008: D86C3300 4C000015
	ds_read_b32 v77, v21 offset:13120                          // 000000007010: D86C3340 4D000015
	ds_read_b32 v78, v21 offset:15232                          // 000000007018: D86C3B80 4E000015
	ds_read_b32 v79, v21 offset:15296                          // 000000007020: D86C3BC0 4F000015
	ds_read_b32 v80, v21 offset:17408                          // 000000007028: D86C4400 50000015
	ds_read_b32 v81, v21 offset:17472                          // 000000007030: D86C4440 51000015
	ds_read_b32 v82, v21 offset:19584                          // 000000007038: D86C4C80 52000015
	ds_read_b32 v83, v21 offset:19648                          // 000000007040: D86C4CC0 53000015
	ds_read_b32 v84, v21 offset:21760                          // 000000007048: D86C5500 54000015
	ds_read_b32 v85, v21 offset:21824                          // 000000007050: D86C5540 55000015
	ds_read_b32 v86, v21 offset:23936                          // 000000007058: D86C5D80 56000015
	ds_read_b32 v87, v21 offset:24000                          // 000000007060: D86C5DC0 57000015
	ds_read_b32 v88, v21 offset:26112                          // 000000007068: D86C6600 58000015
	ds_read_b32 v89, v21 offset:26176                          // 000000007070: D86C6640 59000015
	ds_read_b32 v90, v21 offset:28288                          // 000000007078: D86C6E80 5A000015
	ds_read_b32 v91, v21 offset:28352                          // 000000007080: D86C6EC0 5B000015
	ds_read_b32 v92, v21 offset:30464                          // 000000007088: D86C7700 5C000015
	ds_read_b32 v93, v21 offset:30528                          // 000000007090: D86C7740 5D000015
	ds_read_b32 v94, v21 offset:32640                          // 000000007098: D86C7F80 5E000015
	ds_read_b32 v95, v21 offset:32704                          // 0000000070A0: D86C7FC0 5F000015
	ds_read_b32 v96, v21 offset:34816                          // 0000000070A8: D86C8800 60000015
	ds_read_b32 v97, v21 offset:34880                          // 0000000070B0: D86C8840 61000015
	ds_read_b32 v98, v21 offset:36992                          // 0000000070B8: D86C9080 62000015
	ds_read_b32 v99, v21 offset:37056                          // 0000000070C0: D86C90C0 63000015
	ds_read_b32 v100, v21 offset:39168                         // 0000000070C8: D86C9900 64000015
	ds_read_b32 v101, v21 offset:39232                         // 0000000070D0: D86C9940 65000015
	ds_read_b32 v102, v21 offset:41344                         // 0000000070D8: D86CA180 66000015
	ds_read_b32 v103, v21 offset:41408                         // 0000000070E0: D86CA1C0 67000015
	s_waitcnt lgkmcnt(0)                                       // 0000000070E8: BF8CC07F
	s_mov_b32 s36, -1                                          // 0000000070EC: BEA400C1
	s_mov_b32 s37, -1                                          // 0000000070F0: BEA500C1
	v_mov_b32_e32 v7, 0                                        // 0000000070F4: 7E0E0280
	s_or_b32 s9, s9, 0x40000                                   // 0000000070F8: 8709FF09 00040000
	s_mov_b64 exec, s[36:37]                                   // 000000007100: BEFE0124
	v_mov_b32_e32 v6, v48                                      // 000000007104: 7E0C0330
	s_mov_b64 s[60:61], 0                                      // 000000007108: BEBC0180
	v_readlane_b32 s82, v3, 0                                  // 00000000710C: D2890052 00010103
	s_and_b32 s82, s82, 0xffffff                               // 000000007114: 8652FF52 00FFFFFF
	s_cmp_lt_u32 s82, s66                                      // 00000000711C: BF0A4252
	s_cselect_b32 s20, s36, s60                                // 000000007120: 85143C24
	v_readlane_b32 s82, v3, 1                                  // 000000007124: D2890052 00010303
	s_and_b32 s82, s82, 0xffffff                               // 00000000712C: 8652FF52 00FFFFFF
	s_cmp_lt_u32 s82, s66                                      // 000000007134: BF0A4252
	s_cselect_b32 s21, s36, s60                                // 000000007138: 85153C24
	s_mov_b64 exec, s[20:21]                                   // 00000000713C: BEFE0114
	buffer_store_dword v64, v6, s[8:11], 0 offen               // 000000007140: E0701000 80024006
	buffer_store_dword v66, v6, s[8:11], 0 offen offset:128    // 000000007148: E0701080 80024206
	buffer_store_dword v68, v6, s[8:11], 0 offen offset:256    // 000000007150: E0701100 80024406
	buffer_store_dword v70, v6, s[8:11], 0 offen offset:384    // 000000007158: E0701180 80024606
	s_mov_b64 exec, s[36:37]                                   // 000000007160: BEFE0124
	v_mov_b32_e32 v6, v49                                      // 000000007164: 7E0C0331
	s_mov_b64 s[60:61], 0                                      // 000000007168: BEBC0180
	v_readlane_b32 s82, v3, 2                                  // 00000000716C: D2890052 00010503
	s_and_b32 s82, s82, 0xffffff                               // 000000007174: 8652FF52 00FFFFFF
	s_cmp_lt_u32 s82, s66                                      // 00000000717C: BF0A4252
	s_cselect_b32 s20, s36, s60                                // 000000007180: 85143C24
	v_readlane_b32 s82, v3, 3                                  // 000000007184: D2890052 00010703
	s_and_b32 s82, s82, 0xffffff                               // 00000000718C: 8652FF52 00FFFFFF
	s_cmp_lt_u32 s82, s66                                      // 000000007194: BF0A4252
	s_cselect_b32 s21, s36, s60                                // 000000007198: 85153C24
	s_mov_b64 exec, s[20:21]                                   // 00000000719C: BEFE0114
	buffer_store_dword v65, v6, s[8:11], 0 offen               // 0000000071A0: E0701000 80024106
	buffer_store_dword v67, v6, s[8:11], 0 offen offset:128    // 0000000071A8: E0701080 80024306
	buffer_store_dword v69, v6, s[8:11], 0 offen offset:256    // 0000000071B0: E0701100 80024506
	buffer_store_dword v71, v6, s[8:11], 0 offen offset:384    // 0000000071B8: E0701180 80024706
	s_mov_b64 exec, s[36:37]                                   // 0000000071C0: BEFE0124
	v_mov_b32_e32 v6, v50                                      // 0000000071C4: 7E0C0332
	s_mov_b64 s[60:61], 0                                      // 0000000071C8: BEBC0180
	v_readlane_b32 s82, v3, 4                                  // 0000000071CC: D2890052 00010903
	s_and_b32 s82, s82, 0xffffff                               // 0000000071D4: 8652FF52 00FFFFFF
	s_cmp_lt_u32 s82, s66                                      // 0000000071DC: BF0A4252
	s_cselect_b32 s20, s36, s60                                // 0000000071E0: 85143C24
	v_readlane_b32 s82, v3, 5                                  // 0000000071E4: D2890052 00010B03
	s_and_b32 s82, s82, 0xffffff                               // 0000000071EC: 8652FF52 00FFFFFF
	s_cmp_lt_u32 s82, s66                                      // 0000000071F4: BF0A4252
	s_cselect_b32 s21, s36, s60                                // 0000000071F8: 85153C24
	s_mov_b64 exec, s[20:21]                                   // 0000000071FC: BEFE0114
	buffer_store_dword v72, v6, s[8:11], 0 offen               // 000000007200: E0701000 80024806
	buffer_store_dword v74, v6, s[8:11], 0 offen offset:128    // 000000007208: E0701080 80024A06
	buffer_store_dword v76, v6, s[8:11], 0 offen offset:256    // 000000007210: E0701100 80024C06
	buffer_store_dword v78, v6, s[8:11], 0 offen offset:384    // 000000007218: E0701180 80024E06
	s_mov_b64 exec, s[36:37]                                   // 000000007220: BEFE0124
	v_mov_b32_e32 v6, v51                                      // 000000007224: 7E0C0333
	s_mov_b64 s[60:61], 0                                      // 000000007228: BEBC0180
	v_readlane_b32 s82, v3, 6                                  // 00000000722C: D2890052 00010D03
	s_and_b32 s82, s82, 0xffffff                               // 000000007234: 8652FF52 00FFFFFF
	s_cmp_lt_u32 s82, s66                                      // 00000000723C: BF0A4252
	s_cselect_b32 s20, s36, s60                                // 000000007240: 85143C24
	v_readlane_b32 s82, v3, 7                                  // 000000007244: D2890052 00010F03
	s_and_b32 s82, s82, 0xffffff                               // 00000000724C: 8652FF52 00FFFFFF
	s_cmp_lt_u32 s82, s66                                      // 000000007254: BF0A4252
	s_cselect_b32 s21, s36, s60                                // 000000007258: 85153C24
	s_mov_b64 exec, s[20:21]                                   // 00000000725C: BEFE0114
	buffer_store_dword v73, v6, s[8:11], 0 offen               // 000000007260: E0701000 80024906
	buffer_store_dword v75, v6, s[8:11], 0 offen offset:128    // 000000007268: E0701080 80024B06
	buffer_store_dword v77, v6, s[8:11], 0 offen offset:256    // 000000007270: E0701100 80024D06
	buffer_store_dword v79, v6, s[8:11], 0 offen offset:384    // 000000007278: E0701180 80024F06
	s_mov_b64 exec, s[36:37]                                   // 000000007280: BEFE0124
	v_mov_b32_e32 v6, v52                                      // 000000007284: 7E0C0334
	s_mov_b64 s[60:61], 0                                      // 000000007288: BEBC0180
	v_readlane_b32 s82, v3, 8                                  // 00000000728C: D2890052 00011103
	s_and_b32 s82, s82, 0xffffff                               // 000000007294: 8652FF52 00FFFFFF
	s_cmp_lt_u32 s82, s66                                      // 00000000729C: BF0A4252
	s_cselect_b32 s20, s36, s60                                // 0000000072A0: 85143C24
	v_readlane_b32 s82, v3, 9                                  // 0000000072A4: D2890052 00011303
	s_and_b32 s82, s82, 0xffffff                               // 0000000072AC: 8652FF52 00FFFFFF
	s_cmp_lt_u32 s82, s66                                      // 0000000072B4: BF0A4252
	s_cselect_b32 s21, s36, s60                                // 0000000072B8: 85153C24
	s_mov_b64 exec, s[20:21]                                   // 0000000072BC: BEFE0114
	buffer_store_dword v80, v6, s[8:11], 0 offen               // 0000000072C0: E0701000 80025006
	buffer_store_dword v82, v6, s[8:11], 0 offen offset:128    // 0000000072C8: E0701080 80025206
	buffer_store_dword v84, v6, s[8:11], 0 offen offset:256    // 0000000072D0: E0701100 80025406
	buffer_store_dword v86, v6, s[8:11], 0 offen offset:384    // 0000000072D8: E0701180 80025606
	s_mov_b64 exec, s[36:37]                                   // 0000000072E0: BEFE0124
	v_mov_b32_e32 v6, v53                                      // 0000000072E4: 7E0C0335
	s_mov_b64 s[60:61], 0                                      // 0000000072E8: BEBC0180
	v_readlane_b32 s82, v3, 10                                 // 0000000072EC: D2890052 00011503
	s_and_b32 s82, s82, 0xffffff                               // 0000000072F4: 8652FF52 00FFFFFF
	s_cmp_lt_u32 s82, s66                                      // 0000000072FC: BF0A4252
	s_cselect_b32 s20, s36, s60                                // 000000007300: 85143C24
	v_readlane_b32 s82, v3, 11                                 // 000000007304: D2890052 00011703
	s_and_b32 s82, s82, 0xffffff                               // 00000000730C: 8652FF52 00FFFFFF
	s_cmp_lt_u32 s82, s66                                      // 000000007314: BF0A4252
	s_cselect_b32 s21, s36, s60                                // 000000007318: 85153C24
	s_mov_b64 exec, s[20:21]                                   // 00000000731C: BEFE0114
	buffer_store_dword v81, v6, s[8:11], 0 offen               // 000000007320: E0701000 80025106
	buffer_store_dword v83, v6, s[8:11], 0 offen offset:128    // 000000007328: E0701080 80025306
	buffer_store_dword v85, v6, s[8:11], 0 offen offset:256    // 000000007330: E0701100 80025506
	buffer_store_dword v87, v6, s[8:11], 0 offen offset:384    // 000000007338: E0701180 80025706
	s_mov_b64 exec, s[36:37]                                   // 000000007340: BEFE0124
	v_mov_b32_e32 v6, v54                                      // 000000007344: 7E0C0336
	s_mov_b64 s[60:61], 0                                      // 000000007348: BEBC0180
	v_readlane_b32 s82, v3, 12                                 // 00000000734C: D2890052 00011903
	s_and_b32 s82, s82, 0xffffff                               // 000000007354: 8652FF52 00FFFFFF
	s_cmp_lt_u32 s82, s66                                      // 00000000735C: BF0A4252
	s_cselect_b32 s20, s36, s60                                // 000000007360: 85143C24
	v_readlane_b32 s82, v3, 13                                 // 000000007364: D2890052 00011B03
	s_and_b32 s82, s82, 0xffffff                               // 00000000736C: 8652FF52 00FFFFFF
	s_cmp_lt_u32 s82, s66                                      // 000000007374: BF0A4252
	s_cselect_b32 s21, s36, s60                                // 000000007378: 85153C24
	s_mov_b64 exec, s[20:21]                                   // 00000000737C: BEFE0114
	buffer_store_dword v88, v6, s[8:11], 0 offen               // 000000007380: E0701000 80025806
	buffer_store_dword v90, v6, s[8:11], 0 offen offset:128    // 000000007388: E0701080 80025A06
	buffer_store_dword v92, v6, s[8:11], 0 offen offset:256    // 000000007390: E0701100 80025C06
	buffer_store_dword v94, v6, s[8:11], 0 offen offset:384    // 000000007398: E0701180 80025E06
	s_mov_b64 exec, s[36:37]                                   // 0000000073A0: BEFE0124
	v_mov_b32_e32 v6, v55                                      // 0000000073A4: 7E0C0337
	s_mov_b64 s[60:61], 0                                      // 0000000073A8: BEBC0180
	v_readlane_b32 s82, v3, 14                                 // 0000000073AC: D2890052 00011D03
	s_and_b32 s82, s82, 0xffffff                               // 0000000073B4: 8652FF52 00FFFFFF
	s_cmp_lt_u32 s82, s66                                      // 0000000073BC: BF0A4252
	s_cselect_b32 s20, s36, s60                                // 0000000073C0: 85143C24
	v_readlane_b32 s82, v3, 15                                 // 0000000073C4: D2890052 00011F03
	s_and_b32 s82, s82, 0xffffff                               // 0000000073CC: 8652FF52 00FFFFFF
	s_cmp_lt_u32 s82, s66                                      // 0000000073D4: BF0A4252
	s_cselect_b32 s21, s36, s60                                // 0000000073D8: 85153C24
	s_mov_b64 exec, s[20:21]                                   // 0000000073DC: BEFE0114
	buffer_store_dword v89, v6, s[8:11], 0 offen               // 0000000073E0: E0701000 80025906
	buffer_store_dword v91, v6, s[8:11], 0 offen offset:128    // 0000000073E8: E0701080 80025B06
	buffer_store_dword v93, v6, s[8:11], 0 offen offset:256    // 0000000073F0: E0701100 80025D06
	buffer_store_dword v95, v6, s[8:11], 0 offen offset:384    // 0000000073F8: E0701180 80025F06
	s_mov_b64 exec, s[36:37]                                   // 000000007400: BEFE0124
	v_mov_b32_e32 v6, v56                                      // 000000007404: 7E0C0338
	s_mov_b64 s[60:61], 0                                      // 000000007408: BEBC0180
	v_readlane_b32 s82, v3, 16                                 // 00000000740C: D2890052 00012103
	s_and_b32 s82, s82, 0xffffff                               // 000000007414: 8652FF52 00FFFFFF
	s_cmp_lt_u32 s82, s66                                      // 00000000741C: BF0A4252
	s_cselect_b32 s20, s36, s60                                // 000000007420: 85143C24
	v_readlane_b32 s82, v3, 17                                 // 000000007424: D2890052 00012303
	s_and_b32 s82, s82, 0xffffff                               // 00000000742C: 8652FF52 00FFFFFF
	s_cmp_lt_u32 s82, s66                                      // 000000007434: BF0A4252
	s_cselect_b32 s21, s36, s60                                // 000000007438: 85153C24
	s_mov_b64 exec, s[20:21]                                   // 00000000743C: BEFE0114
	buffer_store_dword v96, v6, s[8:11], 0 offen               // 000000007440: E0701000 80026006
	buffer_store_dword v98, v6, s[8:11], 0 offen offset:128    // 000000007448: E0701080 80026206
	buffer_store_dword v100, v6, s[8:11], 0 offen offset:256   // 000000007450: E0701100 80026406
	buffer_store_dword v102, v6, s[8:11], 0 offen offset:384   // 000000007458: E0701180 80026606
	s_mov_b64 exec, s[36:37]                                   // 000000007460: BEFE0124
	v_mov_b32_e32 v6, v57                                      // 000000007464: 7E0C0339
	s_mov_b64 s[60:61], 0                                      // 000000007468: BEBC0180
	v_readlane_b32 s82, v3, 18                                 // 00000000746C: D2890052 00012503
	s_and_b32 s82, s82, 0xffffff                               // 000000007474: 8652FF52 00FFFFFF
	s_cmp_lt_u32 s82, s66                                      // 00000000747C: BF0A4252
	s_cselect_b32 s20, s36, s60                                // 000000007480: 85143C24
	v_readlane_b32 s82, v3, 19                                 // 000000007484: D2890052 00012703
	s_and_b32 s82, s82, 0xffffff                               // 00000000748C: 8652FF52 00FFFFFF
	s_cmp_lt_u32 s82, s66                                      // 000000007494: BF0A4252
	s_cselect_b32 s21, s36, s60                                // 000000007498: 85153C24
	s_mov_b64 exec, s[20:21]                                   // 00000000749C: BEFE0114
	buffer_store_dword v97, v6, s[8:11], 0 offen               // 0000000074A0: E0701000 80026106
	buffer_store_dword v99, v6, s[8:11], 0 offen offset:128    // 0000000074A8: E0701080 80026306
	buffer_store_dword v101, v6, s[8:11], 0 offen offset:256   // 0000000074B0: E0701100 80026506
	buffer_store_dword v103, v6, s[8:11], 0 offen offset:384   // 0000000074B8: E0701180 80026706
	s_mov_b64 exec, s[36:37]                                   // 0000000074C0: BEFE0124
	s_branch label_2F94                                        // 0000000074C4: BF821CDF

00000000000074c8 <label_12B2>:
	ds_write_b64 v20, v[64:65]                                 // 0000000074C8: D89A0000 00004014
	ds_write_b64 v20, v[68:69] offset:8704                     // 0000000074D0: D89A2200 00004414
	ds_write_b64 v20, v[72:73] offset:17408                    // 0000000074D8: D89A4400 00004814
	ds_write_b64 v20, v[76:77] offset:26112                    // 0000000074E0: D89A6600 00004C14
	ds_write_b64 v20, v[80:81] offset:34816                    // 0000000074E8: D89A8800 00005014
	ds_write_b64 v20, v[84:85] offset:2176                     // 0000000074F0: D89A0880 00005414
	ds_write_b64 v20, v[88:89] offset:10880                    // 0000000074F8: D89A2A80 00005814
	ds_write_b64 v20, v[92:93] offset:19584                    // 000000007500: D89A4C80 00005C14
	ds_write_b64 v20, v[96:97] offset:28288                    // 000000007508: D89A6E80 00006014
	ds_write_b64 v20, v[100:101] offset:36992                  // 000000007510: D89A9080 00006414
	ds_write_b64 v20, v[104:105] offset:4352                   // 000000007518: D89A1100 00006814
	ds_write_b64 v20, v[108:109] offset:13056                  // 000000007520: D89A3300 00006C14
	ds_write_b64 v20, v[112:113] offset:21760                  // 000000007528: D89A5500 00007014
	ds_write_b64 v20, v[116:117] offset:30464                  // 000000007530: D89A7700 00007414
	ds_write_b64 v20, v[120:121] offset:39168                  // 000000007538: D89A9900 00007814
	ds_write_b64 v20, v[124:125] offset:6528                   // 000000007540: D89A1980 00007C14
	ds_write_b64 v20, v[128:129] offset:15232                  // 000000007548: D89A3B80 00008014
	ds_write_b64 v20, v[132:133] offset:23936                  // 000000007550: D89A5D80 00008414
	ds_write_b64 v20, v[136:137] offset:32640                  // 000000007558: D89A7F80 00008814
	ds_write_b64 v20, v[140:141] offset:41344                  // 000000007560: D89AA180 00008C14
	v_lshrrev_b32_e32 v4, 5, v0                                // 000000007568: 20080085
	v_xor_b32_e32 v5, 1, v4                                    // 00000000756C: 2A0A0881
	s_mul_i32 s60, s65, 2                                      // 000000007570: 923C8241
	s_cmp_eq_u32 s88, 0                                        // 000000007574: BF068058
	s_cselect_b32 s61, 1, 4                                    // 000000007578: 853D8481
	s_mul_i32 s60, s61, s60                                    // 00000000757C: 923C3C3D
	v_readlane_b32 s82, v3, 0                                  // 000000007580: D2890052 00010103
	s_lshr_b32 s61, s82, 24                                    // 000000007588: 8F3D9852
	s_and_b32 s82, s82, 0xffffff                               // 00000000758C: 8652FF52 00FFFFFF
	s_mul_i32 s82, s82, s71                                    // 000000007594: 92524752
	s_mul_i32 s61, s60, s61                                    // 000000007598: 923D3D3C
	s_add_u32 s82, s82, s61                                    // 00000000759C: 80523D52
	v_mul_lo_u32 v6, v5, s82                                   // 0000000075A0: D2850006 0000A505
	v_readlane_b32 s82, v3, 1                                  // 0000000075A8: D2890052 00010303
	s_lshr_b32 s61, s82, 24                                    // 0000000075B0: 8F3D9852
	s_and_b32 s82, s82, 0xffffff                               // 0000000075B4: 8652FF52 00FFFFFF
	s_mul_i32 s82, s82, s71                                    // 0000000075BC: 92524752
	s_mul_i32 s61, s60, s61                                    // 0000000075C0: 923D3D3C
	s_add_u32 s82, s82, s61                                    // 0000000075C4: 80523D52
	v_mul_lo_u32 v7, v4, s82                                   // 0000000075C8: D2850007 0000A504
	v_add_u32_e32 v48, v6, v7                                  // 0000000075D0: 68600F06
	v_readlane_b32 s82, v3, 2                                  // 0000000075D4: D2890052 00010503
	s_lshr_b32 s61, s82, 24                                    // 0000000075DC: 8F3D9852
	s_and_b32 s82, s82, 0xffffff                               // 0000000075E0: 8652FF52 00FFFFFF
	s_mul_i32 s82, s82, s71                                    // 0000000075E8: 92524752
	s_mul_i32 s61, s60, s61                                    // 0000000075EC: 923D3D3C
	s_add_u32 s82, s82, s61                                    // 0000000075F0: 80523D52
	v_mul_lo_u32 v6, v5, s82                                   // 0000000075F4: D2850006 0000A505
	v_readlane_b32 s82, v3, 3                                  // 0000000075FC: D2890052 00010703
	s_lshr_b32 s61, s82, 24                                    // 000000007604: 8F3D9852
	s_and_b32 s82, s82, 0xffffff                               // 000000007608: 8652FF52 00FFFFFF
	s_mul_i32 s82, s82, s71                                    // 000000007610: 92524752
	s_mul_i32 s61, s60, s61                                    // 000000007614: 923D3D3C
	s_add_u32 s82, s82, s61                                    // 000000007618: 80523D52
	v_mul_lo_u32 v7, v4, s82                                   // 00000000761C: D2850007 0000A504
	v_add_u32_e32 v49, v6, v7                                  // 000000007624: 68620F06
	v_readlane_b32 s82, v3, 4                                  // 000000007628: D2890052 00010903
	s_lshr_b32 s61, s82, 24                                    // 000000007630: 8F3D9852
	s_and_b32 s82, s82, 0xffffff                               // 000000007634: 8652FF52 00FFFFFF
	s_mul_i32 s82, s82, s71                                    // 00000000763C: 92524752
	s_mul_i32 s61, s60, s61                                    // 000000007640: 923D3D3C
	s_add_u32 s82, s82, s61                                    // 000000007644: 80523D52
	v_mul_lo_u32 v6, v5, s82                                   // 000000007648: D2850006 0000A505
	v_readlane_b32 s82, v3, 5                                  // 000000007650: D2890052 00010B03
	s_lshr_b32 s61, s82, 24                                    // 000000007658: 8F3D9852
	s_and_b32 s82, s82, 0xffffff                               // 00000000765C: 8652FF52 00FFFFFF
	s_mul_i32 s82, s82, s71                                    // 000000007664: 92524752
	s_mul_i32 s61, s60, s61                                    // 000000007668: 923D3D3C
	s_add_u32 s82, s82, s61                                    // 00000000766C: 80523D52
	v_mul_lo_u32 v7, v4, s82                                   // 000000007670: D2850007 0000A504
	v_add_u32_e32 v50, v6, v7                                  // 000000007678: 68640F06
	v_readlane_b32 s82, v3, 6                                  // 00000000767C: D2890052 00010D03
	s_lshr_b32 s61, s82, 24                                    // 000000007684: 8F3D9852
	s_and_b32 s82, s82, 0xffffff                               // 000000007688: 8652FF52 00FFFFFF
	s_mul_i32 s82, s82, s71                                    // 000000007690: 92524752
	s_mul_i32 s61, s60, s61                                    // 000000007694: 923D3D3C
	s_add_u32 s82, s82, s61                                    // 000000007698: 80523D52
	v_mul_lo_u32 v6, v5, s82                                   // 00000000769C: D2850006 0000A505
	v_readlane_b32 s82, v3, 7                                  // 0000000076A4: D2890052 00010F03
	s_lshr_b32 s61, s82, 24                                    // 0000000076AC: 8F3D9852
	s_and_b32 s82, s82, 0xffffff                               // 0000000076B0: 8652FF52 00FFFFFF
	s_mul_i32 s82, s82, s71                                    // 0000000076B8: 92524752
	s_mul_i32 s61, s60, s61                                    // 0000000076BC: 923D3D3C
	s_add_u32 s82, s82, s61                                    // 0000000076C0: 80523D52
	v_mul_lo_u32 v7, v4, s82                                   // 0000000076C4: D2850007 0000A504
	v_add_u32_e32 v51, v6, v7                                  // 0000000076CC: 68660F06
	v_readlane_b32 s82, v3, 8                                  // 0000000076D0: D2890052 00011103
	s_lshr_b32 s61, s82, 24                                    // 0000000076D8: 8F3D9852
	s_and_b32 s82, s82, 0xffffff                               // 0000000076DC: 8652FF52 00FFFFFF
	s_mul_i32 s82, s82, s71                                    // 0000000076E4: 92524752
	s_mul_i32 s61, s60, s61                                    // 0000000076E8: 923D3D3C
	s_add_u32 s82, s82, s61                                    // 0000000076EC: 80523D52
	v_mul_lo_u32 v6, v5, s82                                   // 0000000076F0: D2850006 0000A505
	v_readlane_b32 s82, v3, 9                                  // 0000000076F8: D2890052 00011303
	s_lshr_b32 s61, s82, 24                                    // 000000007700: 8F3D9852
	s_and_b32 s82, s82, 0xffffff                               // 000000007704: 8652FF52 00FFFFFF
	s_mul_i32 s82, s82, s71                                    // 00000000770C: 92524752
	s_mul_i32 s61, s60, s61                                    // 000000007710: 923D3D3C
	s_add_u32 s82, s82, s61                                    // 000000007714: 80523D52
	v_mul_lo_u32 v7, v4, s82                                   // 000000007718: D2850007 0000A504
	v_add_u32_e32 v52, v6, v7                                  // 000000007720: 68680F06
	v_readlane_b32 s82, v3, 10                                 // 000000007724: D2890052 00011503
	s_lshr_b32 s61, s82, 24                                    // 00000000772C: 8F3D9852
	s_and_b32 s82, s82, 0xffffff                               // 000000007730: 8652FF52 00FFFFFF
	s_mul_i32 s82, s82, s71                                    // 000000007738: 92524752
	s_mul_i32 s61, s60, s61                                    // 00000000773C: 923D3D3C
	s_add_u32 s82, s82, s61                                    // 000000007740: 80523D52
	v_mul_lo_u32 v6, v5, s82                                   // 000000007744: D2850006 0000A505
	v_readlane_b32 s82, v3, 11                                 // 00000000774C: D2890052 00011703
	s_lshr_b32 s61, s82, 24                                    // 000000007754: 8F3D9852
	s_and_b32 s82, s82, 0xffffff                               // 000000007758: 8652FF52 00FFFFFF
	s_mul_i32 s82, s82, s71                                    // 000000007760: 92524752
	s_mul_i32 s61, s60, s61                                    // 000000007764: 923D3D3C
	s_add_u32 s82, s82, s61                                    // 000000007768: 80523D52
	v_mul_lo_u32 v7, v4, s82                                   // 00000000776C: D2850007 0000A504
	v_add_u32_e32 v53, v6, v7                                  // 000000007774: 686A0F06
	v_readlane_b32 s82, v3, 12                                 // 000000007778: D2890052 00011903
	s_lshr_b32 s61, s82, 24                                    // 000000007780: 8F3D9852
	s_and_b32 s82, s82, 0xffffff                               // 000000007784: 8652FF52 00FFFFFF
	s_mul_i32 s82, s82, s71                                    // 00000000778C: 92524752
	s_mul_i32 s61, s60, s61                                    // 000000007790: 923D3D3C
	s_add_u32 s82, s82, s61                                    // 000000007794: 80523D52
	v_mul_lo_u32 v6, v5, s82                                   // 000000007798: D2850006 0000A505
	v_readlane_b32 s82, v3, 13                                 // 0000000077A0: D2890052 00011B03
	s_lshr_b32 s61, s82, 24                                    // 0000000077A8: 8F3D9852
	s_and_b32 s82, s82, 0xffffff                               // 0000000077AC: 8652FF52 00FFFFFF
	s_mul_i32 s82, s82, s71                                    // 0000000077B4: 92524752
	s_mul_i32 s61, s60, s61                                    // 0000000077B8: 923D3D3C
	s_add_u32 s82, s82, s61                                    // 0000000077BC: 80523D52
	v_mul_lo_u32 v7, v4, s82                                   // 0000000077C0: D2850007 0000A504
	v_add_u32_e32 v54, v6, v7                                  // 0000000077C8: 686C0F06
	v_readlane_b32 s82, v3, 14                                 // 0000000077CC: D2890052 00011D03
	s_lshr_b32 s61, s82, 24                                    // 0000000077D4: 8F3D9852
	s_and_b32 s82, s82, 0xffffff                               // 0000000077D8: 8652FF52 00FFFFFF
	s_mul_i32 s82, s82, s71                                    // 0000000077E0: 92524752
	s_mul_i32 s61, s60, s61                                    // 0000000077E4: 923D3D3C
	s_add_u32 s82, s82, s61                                    // 0000000077E8: 80523D52
	v_mul_lo_u32 v6, v5, s82                                   // 0000000077EC: D2850006 0000A505
	v_readlane_b32 s82, v3, 15                                 // 0000000077F4: D2890052 00011F03
	s_lshr_b32 s61, s82, 24                                    // 0000000077FC: 8F3D9852
	s_and_b32 s82, s82, 0xffffff                               // 000000007800: 8652FF52 00FFFFFF
	s_mul_i32 s82, s82, s71                                    // 000000007808: 92524752
	s_mul_i32 s61, s60, s61                                    // 00000000780C: 923D3D3C
	s_add_u32 s82, s82, s61                                    // 000000007810: 80523D52
	v_mul_lo_u32 v7, v4, s82                                   // 000000007814: D2850007 0000A504
	v_add_u32_e32 v55, v6, v7                                  // 00000000781C: 686E0F06
	v_readlane_b32 s82, v3, 16                                 // 000000007820: D2890052 00012103
	s_lshr_b32 s61, s82, 24                                    // 000000007828: 8F3D9852
	s_and_b32 s82, s82, 0xffffff                               // 00000000782C: 8652FF52 00FFFFFF
	s_mul_i32 s82, s82, s71                                    // 000000007834: 92524752
	s_mul_i32 s61, s60, s61                                    // 000000007838: 923D3D3C
	s_add_u32 s82, s82, s61                                    // 00000000783C: 80523D52
	v_mul_lo_u32 v6, v5, s82                                   // 000000007840: D2850006 0000A505
	v_readlane_b32 s82, v3, 17                                 // 000000007848: D2890052 00012303
	s_lshr_b32 s61, s82, 24                                    // 000000007850: 8F3D9852
	s_and_b32 s82, s82, 0xffffff                               // 000000007854: 8652FF52 00FFFFFF
	s_mul_i32 s82, s82, s71                                    // 00000000785C: 92524752
	s_mul_i32 s61, s60, s61                                    // 000000007860: 923D3D3C
	s_add_u32 s82, s82, s61                                    // 000000007864: 80523D52
	v_mul_lo_u32 v7, v4, s82                                   // 000000007868: D2850007 0000A504
	v_add_u32_e32 v56, v6, v7                                  // 000000007870: 68700F06
	v_readlane_b32 s82, v3, 18                                 // 000000007874: D2890052 00012503
	s_lshr_b32 s61, s82, 24                                    // 00000000787C: 8F3D9852
	s_and_b32 s82, s82, 0xffffff                               // 000000007880: 8652FF52 00FFFFFF
	s_mul_i32 s82, s82, s71                                    // 000000007888: 92524752
	s_mul_i32 s61, s60, s61                                    // 00000000788C: 923D3D3C
	s_add_u32 s82, s82, s61                                    // 000000007890: 80523D52
	v_mul_lo_u32 v6, v5, s82                                   // 000000007894: D2850006 0000A505
	v_readlane_b32 s82, v3, 19                                 // 00000000789C: D2890052 00012703
	s_lshr_b32 s61, s82, 24                                    // 0000000078A4: 8F3D9852
	s_and_b32 s82, s82, 0xffffff                               // 0000000078A8: 8652FF52 00FFFFFF
	s_mul_i32 s82, s82, s71                                    // 0000000078B0: 92524752
	s_mul_i32 s61, s60, s61                                    // 0000000078B4: 923D3D3C
	s_add_u32 s82, s82, s61                                    // 0000000078B8: 80523D52
	v_mul_lo_u32 v7, v4, s82                                   // 0000000078BC: D2850007 0000A504
	v_add_u32_e32 v57, v6, v7                                  // 0000000078C4: 68720F06
	v_and_b32_e32 v4, 31, v0                                   // 0000000078C8: 2608009F
	v_lshrrev_b32_e32 v4, 1, v4                                // 0000000078CC: 20080881
	s_cmp_eq_u32 s88, 0                                        // 0000000078D0: BF068058
	s_cselect_b32 s61, 2, 4                                    // 0000000078D4: 853D8482
	v_mul_lo_u32 v4, v4, s61                                   // 0000000078D8: D2850004 00007B04
	v_and_b32_e64 v5, v0, 1                                    // 0000000078E0: D1130005 00010300
	v_add_u32_e32 v4, v4, v5                                   // 0000000078E8: 68080B04
	v_lshlrev_b32_e32 v4, 2, v4                                // 0000000078EC: 24080882
	v_add_u32_e32 v48, v48, v4                                 // 0000000078F0: 68600930
	v_add_u32_e32 v49, v49, v4                                 // 0000000078F4: 68620931
	v_add_u32_e32 v50, v50, v4                                 // 0000000078F8: 68640932
	v_add_u32_e32 v51, v51, v4                                 // 0000000078FC: 68660933
	v_add_u32_e32 v52, v52, v4                                 // 000000007900: 68680934
	v_add_u32_e32 v53, v53, v4                                 // 000000007904: 686A0935
	v_add_u32_e32 v54, v54, v4                                 // 000000007908: 686C0936
	v_add_u32_e32 v55, v55, v4                                 // 00000000790C: 686E0937
	v_add_u32_e32 v56, v56, v4                                 // 000000007910: 68700938
	v_add_u32_e32 v57, v57, v4                                 // 000000007914: 68720939
	s_waitcnt lgkmcnt(0)                                       // 000000007918: BF8CC07F
	s_barrier                                                  // 00000000791C: BF8A0000
	ds_read_b32 v64, v21                                       // 000000007920: D86C0000 40000015
	ds_read_b32 v65, v21 offset:64                             // 000000007928: D86C0040 41000015
	ds_read_b32 v68, v21 offset:2176                           // 000000007930: D86C0880 44000015
	ds_read_b32 v69, v21 offset:2240                           // 000000007938: D86C08C0 45000015
	ds_read_b32 v72, v21 offset:4352                           // 000000007940: D86C1100 48000015
	ds_read_b32 v73, v21 offset:4416                           // 000000007948: D86C1140 49000015
	ds_read_b32 v76, v21 offset:6528                           // 000000007950: D86C1980 4C000015
	ds_read_b32 v77, v21 offset:6592                           // 000000007958: D86C19C0 4D000015
	ds_read_b32 v80, v21 offset:8704                           // 000000007960: D86C2200 50000015
	ds_read_b32 v81, v21 offset:8768                           // 000000007968: D86C2240 51000015
	ds_read_b32 v84, v21 offset:10880                          // 000000007970: D86C2A80 54000015
	ds_read_b32 v85, v21 offset:10944                          // 000000007978: D86C2AC0 55000015
	ds_read_b32 v88, v21 offset:13056                          // 000000007980: D86C3300 58000015
	ds_read_b32 v89, v21 offset:13120                          // 000000007988: D86C3340 59000015
	ds_read_b32 v92, v21 offset:15232                          // 000000007990: D86C3B80 5C000015
	ds_read_b32 v93, v21 offset:15296                          // 000000007998: D86C3BC0 5D000015
	ds_read_b32 v96, v21 offset:17408                          // 0000000079A0: D86C4400 60000015
	ds_read_b32 v97, v21 offset:17472                          // 0000000079A8: D86C4440 61000015
	ds_read_b32 v100, v21 offset:19584                         // 0000000079B0: D86C4C80 64000015
	ds_read_b32 v101, v21 offset:19648                         // 0000000079B8: D86C4CC0 65000015
	ds_read_b32 v104, v21 offset:21760                         // 0000000079C0: D86C5500 68000015
	ds_read_b32 v105, v21 offset:21824                         // 0000000079C8: D86C5540 69000015
	ds_read_b32 v108, v21 offset:23936                         // 0000000079D0: D86C5D80 6C000015
	ds_read_b32 v109, v21 offset:24000                         // 0000000079D8: D86C5DC0 6D000015
	ds_read_b32 v112, v21 offset:26112                         // 0000000079E0: D86C6600 70000015
	ds_read_b32 v113, v21 offset:26176                         // 0000000079E8: D86C6640 71000015
	ds_read_b32 v116, v21 offset:28288                         // 0000000079F0: D86C6E80 74000015
	ds_read_b32 v117, v21 offset:28352                         // 0000000079F8: D86C6EC0 75000015
	ds_read_b32 v120, v21 offset:30464                         // 000000007A00: D86C7700 78000015
	ds_read_b32 v121, v21 offset:30528                         // 000000007A08: D86C7740 79000015
	ds_read_b32 v124, v21 offset:32640                         // 000000007A10: D86C7F80 7C000015
	ds_read_b32 v125, v21 offset:32704                         // 000000007A18: D86C7FC0 7D000015
	ds_read_b32 v128, v21 offset:34816                         // 000000007A20: D86C8800 80000015
	ds_read_b32 v129, v21 offset:34880                         // 000000007A28: D86C8840 81000015
	ds_read_b32 v132, v21 offset:36992                         // 000000007A30: D86C9080 84000015
	ds_read_b32 v133, v21 offset:37056                         // 000000007A38: D86C90C0 85000015
	ds_read_b32 v136, v21 offset:39168                         // 000000007A40: D86C9900 88000015
	ds_read_b32 v137, v21 offset:39232                         // 000000007A48: D86C9940 89000015
	ds_read_b32 v140, v21 offset:41344                         // 000000007A50: D86CA180 8C000015
	ds_read_b32 v141, v21 offset:41408                         // 000000007A58: D86CA1C0 8D000015
	s_waitcnt lgkmcnt(0)                                       // 000000007A60: BF8CC07F
	s_mov_b32 s36, -1                                          // 000000007A64: BEA400C1
	s_mov_b32 s37, -1                                          // 000000007A68: BEA500C1
	v_mov_b32_e32 v7, 0                                        // 000000007A6C: 7E0E0280
	s_mov_b64 exec, s[36:37]                                   // 000000007A70: BEFE0124
	v_mov_b32_e32 v6, v48                                      // 000000007A74: 7E0C0330
	s_mov_b64 s[60:61], 0                                      // 000000007A78: BEBC0180
	v_readlane_b32 s82, v3, 0                                  // 000000007A7C: D2890052 00010103
	s_and_b32 s82, s82, 0xffffff                               // 000000007A84: 8652FF52 00FFFFFF
	s_cmp_lt_u32 s82, s66                                      // 000000007A8C: BF0A4252
	s_cselect_b32 s20, s36, s60                                // 000000007A90: 85143C24
	v_readlane_b32 s82, v3, 1                                  // 000000007A94: D2890052 00010303
	s_and_b32 s82, s82, 0xffffff                               // 000000007A9C: 8652FF52 00FFFFFF
	s_cmp_lt_u32 s82, s66                                      // 000000007AA4: BF0A4252
	s_cselect_b32 s21, s36, s60                                // 000000007AA8: 85153C24
	s_mov_b64 exec, s[20:21]                                   // 000000007AAC: BEFE0114
	global_atomic_add_f32 v6, v64, s[8:9]                      // 000000007AB0: DD348000 00084006
	global_atomic_add_f32 v6, v68, s[8:9] offset:256           // 000000007AB8: DD348100 00084406
	global_atomic_add_f32 v6, v72, s[8:9] offset:512           // 000000007AC0: DD348200 00084806
	global_atomic_add_f32 v6, v76, s[8:9] offset:768           // 000000007AC8: DD348300 00084C06
	s_mov_b64 exec, s[36:37]                                   // 000000007AD0: BEFE0124
	v_mov_b32_e32 v6, v49                                      // 000000007AD4: 7E0C0331
	s_mov_b64 s[60:61], 0                                      // 000000007AD8: BEBC0180
	v_readlane_b32 s82, v3, 2                                  // 000000007ADC: D2890052 00010503
	s_and_b32 s82, s82, 0xffffff                               // 000000007AE4: 8652FF52 00FFFFFF
	s_cmp_lt_u32 s82, s66                                      // 000000007AEC: BF0A4252
	s_cselect_b32 s20, s36, s60                                // 000000007AF0: 85143C24
	v_readlane_b32 s82, v3, 3                                  // 000000007AF4: D2890052 00010703
	s_and_b32 s82, s82, 0xffffff                               // 000000007AFC: 8652FF52 00FFFFFF
	s_cmp_lt_u32 s82, s66                                      // 000000007B04: BF0A4252
	s_cselect_b32 s21, s36, s60                                // 000000007B08: 85153C24
	s_mov_b64 exec, s[20:21]                                   // 000000007B0C: BEFE0114
	global_atomic_add_f32 v6, v65, s[8:9]                      // 000000007B10: DD348000 00084106
	global_atomic_add_f32 v6, v69, s[8:9] offset:256           // 000000007B18: DD348100 00084506
	global_atomic_add_f32 v6, v73, s[8:9] offset:512           // 000000007B20: DD348200 00084906
	global_atomic_add_f32 v6, v77, s[8:9] offset:768           // 000000007B28: DD348300 00084D06
	s_mov_b64 exec, s[36:37]                                   // 000000007B30: BEFE0124
	v_mov_b32_e32 v6, v50                                      // 000000007B34: 7E0C0332
	s_mov_b64 s[60:61], 0                                      // 000000007B38: BEBC0180
	v_readlane_b32 s82, v3, 4                                  // 000000007B3C: D2890052 00010903
	s_and_b32 s82, s82, 0xffffff                               // 000000007B44: 8652FF52 00FFFFFF
	s_cmp_lt_u32 s82, s66                                      // 000000007B4C: BF0A4252
	s_cselect_b32 s20, s36, s60                                // 000000007B50: 85143C24
	v_readlane_b32 s82, v3, 5                                  // 000000007B54: D2890052 00010B03
	s_and_b32 s82, s82, 0xffffff                               // 000000007B5C: 8652FF52 00FFFFFF
	s_cmp_lt_u32 s82, s66                                      // 000000007B64: BF0A4252
	s_cselect_b32 s21, s36, s60                                // 000000007B68: 85153C24
	s_mov_b64 exec, s[20:21]                                   // 000000007B6C: BEFE0114
	global_atomic_add_f32 v6, v80, s[8:9]                      // 000000007B70: DD348000 00085006
	global_atomic_add_f32 v6, v84, s[8:9] offset:256           // 000000007B78: DD348100 00085406
	global_atomic_add_f32 v6, v88, s[8:9] offset:512           // 000000007B80: DD348200 00085806
	global_atomic_add_f32 v6, v92, s[8:9] offset:768           // 000000007B88: DD348300 00085C06
	s_mov_b64 exec, s[36:37]                                   // 000000007B90: BEFE0124
	v_mov_b32_e32 v6, v51                                      // 000000007B94: 7E0C0333
	s_mov_b64 s[60:61], 0                                      // 000000007B98: BEBC0180
	v_readlane_b32 s82, v3, 6                                  // 000000007B9C: D2890052 00010D03
	s_and_b32 s82, s82, 0xffffff                               // 000000007BA4: 8652FF52 00FFFFFF
	s_cmp_lt_u32 s82, s66                                      // 000000007BAC: BF0A4252
	s_cselect_b32 s20, s36, s60                                // 000000007BB0: 85143C24
	v_readlane_b32 s82, v3, 7                                  // 000000007BB4: D2890052 00010F03
	s_and_b32 s82, s82, 0xffffff                               // 000000007BBC: 8652FF52 00FFFFFF
	s_cmp_lt_u32 s82, s66                                      // 000000007BC4: BF0A4252
	s_cselect_b32 s21, s36, s60                                // 000000007BC8: 85153C24
	s_mov_b64 exec, s[20:21]                                   // 000000007BCC: BEFE0114
	global_atomic_add_f32 v6, v81, s[8:9]                      // 000000007BD0: DD348000 00085106
	global_atomic_add_f32 v6, v85, s[8:9] offset:256           // 000000007BD8: DD348100 00085506
	global_atomic_add_f32 v6, v89, s[8:9] offset:512           // 000000007BE0: DD348200 00085906
	global_atomic_add_f32 v6, v93, s[8:9] offset:768           // 000000007BE8: DD348300 00085D06
	s_mov_b64 exec, s[36:37]                                   // 000000007BF0: BEFE0124
	v_mov_b32_e32 v6, v52                                      // 000000007BF4: 7E0C0334
	s_mov_b64 s[60:61], 0                                      // 000000007BF8: BEBC0180
	v_readlane_b32 s82, v3, 8                                  // 000000007BFC: D2890052 00011103
	s_and_b32 s82, s82, 0xffffff                               // 000000007C04: 8652FF52 00FFFFFF
	s_cmp_lt_u32 s82, s66                                      // 000000007C0C: BF0A4252
	s_cselect_b32 s20, s36, s60                                // 000000007C10: 85143C24
	v_readlane_b32 s82, v3, 9                                  // 000000007C14: D2890052 00011303
	s_and_b32 s82, s82, 0xffffff                               // 000000007C1C: 8652FF52 00FFFFFF
	s_cmp_lt_u32 s82, s66                                      // 000000007C24: BF0A4252
	s_cselect_b32 s21, s36, s60                                // 000000007C28: 85153C24
	s_mov_b64 exec, s[20:21]                                   // 000000007C2C: BEFE0114
	global_atomic_add_f32 v6, v96, s[8:9]                      // 000000007C30: DD348000 00086006
	global_atomic_add_f32 v6, v100, s[8:9] offset:256          // 000000007C38: DD348100 00086406
	global_atomic_add_f32 v6, v104, s[8:9] offset:512          // 000000007C40: DD348200 00086806
	global_atomic_add_f32 v6, v108, s[8:9] offset:768          // 000000007C48: DD348300 00086C06
	s_mov_b64 exec, s[36:37]                                   // 000000007C50: BEFE0124
	v_mov_b32_e32 v6, v53                                      // 000000007C54: 7E0C0335
	s_mov_b64 s[60:61], 0                                      // 000000007C58: BEBC0180
	v_readlane_b32 s82, v3, 10                                 // 000000007C5C: D2890052 00011503
	s_and_b32 s82, s82, 0xffffff                               // 000000007C64: 8652FF52 00FFFFFF
	s_cmp_lt_u32 s82, s66                                      // 000000007C6C: BF0A4252
	s_cselect_b32 s20, s36, s60                                // 000000007C70: 85143C24
	v_readlane_b32 s82, v3, 11                                 // 000000007C74: D2890052 00011703
	s_and_b32 s82, s82, 0xffffff                               // 000000007C7C: 8652FF52 00FFFFFF
	s_cmp_lt_u32 s82, s66                                      // 000000007C84: BF0A4252
	s_cselect_b32 s21, s36, s60                                // 000000007C88: 85153C24
	s_mov_b64 exec, s[20:21]                                   // 000000007C8C: BEFE0114
	global_atomic_add_f32 v6, v97, s[8:9]                      // 000000007C90: DD348000 00086106
	global_atomic_add_f32 v6, v101, s[8:9] offset:256          // 000000007C98: DD348100 00086506
	global_atomic_add_f32 v6, v105, s[8:9] offset:512          // 000000007CA0: DD348200 00086906
	global_atomic_add_f32 v6, v109, s[8:9] offset:768          // 000000007CA8: DD348300 00086D06
	s_mov_b64 exec, s[36:37]                                   // 000000007CB0: BEFE0124
	v_mov_b32_e32 v6, v54                                      // 000000007CB4: 7E0C0336
	s_mov_b64 s[60:61], 0                                      // 000000007CB8: BEBC0180
	v_readlane_b32 s82, v3, 12                                 // 000000007CBC: D2890052 00011903
	s_and_b32 s82, s82, 0xffffff                               // 000000007CC4: 8652FF52 00FFFFFF
	s_cmp_lt_u32 s82, s66                                      // 000000007CCC: BF0A4252
	s_cselect_b32 s20, s36, s60                                // 000000007CD0: 85143C24
	v_readlane_b32 s82, v3, 13                                 // 000000007CD4: D2890052 00011B03
	s_and_b32 s82, s82, 0xffffff                               // 000000007CDC: 8652FF52 00FFFFFF
	s_cmp_lt_u32 s82, s66                                      // 000000007CE4: BF0A4252
	s_cselect_b32 s21, s36, s60                                // 000000007CE8: 85153C24
	s_mov_b64 exec, s[20:21]                                   // 000000007CEC: BEFE0114
	global_atomic_add_f32 v6, v112, s[8:9]                     // 000000007CF0: DD348000 00087006
	global_atomic_add_f32 v6, v116, s[8:9] offset:256          // 000000007CF8: DD348100 00087406
	global_atomic_add_f32 v6, v120, s[8:9] offset:512          // 000000007D00: DD348200 00087806
	global_atomic_add_f32 v6, v124, s[8:9] offset:768          // 000000007D08: DD348300 00087C06
	s_mov_b64 exec, s[36:37]                                   // 000000007D10: BEFE0124
	v_mov_b32_e32 v6, v55                                      // 000000007D14: 7E0C0337
	s_mov_b64 s[60:61], 0                                      // 000000007D18: BEBC0180
	v_readlane_b32 s82, v3, 14                                 // 000000007D1C: D2890052 00011D03
	s_and_b32 s82, s82, 0xffffff                               // 000000007D24: 8652FF52 00FFFFFF
	s_cmp_lt_u32 s82, s66                                      // 000000007D2C: BF0A4252
	s_cselect_b32 s20, s36, s60                                // 000000007D30: 85143C24
	v_readlane_b32 s82, v3, 15                                 // 000000007D34: D2890052 00011F03
	s_and_b32 s82, s82, 0xffffff                               // 000000007D3C: 8652FF52 00FFFFFF
	s_cmp_lt_u32 s82, s66                                      // 000000007D44: BF0A4252
	s_cselect_b32 s21, s36, s60                                // 000000007D48: 85153C24
	s_mov_b64 exec, s[20:21]                                   // 000000007D4C: BEFE0114
	global_atomic_add_f32 v6, v113, s[8:9]                     // 000000007D50: DD348000 00087106
	global_atomic_add_f32 v6, v117, s[8:9] offset:256          // 000000007D58: DD348100 00087506
	global_atomic_add_f32 v6, v121, s[8:9] offset:512          // 000000007D60: DD348200 00087906
	global_atomic_add_f32 v6, v125, s[8:9] offset:768          // 000000007D68: DD348300 00087D06
	s_mov_b64 exec, s[36:37]                                   // 000000007D70: BEFE0124
	v_mov_b32_e32 v6, v56                                      // 000000007D74: 7E0C0338
	s_mov_b64 s[60:61], 0                                      // 000000007D78: BEBC0180
	v_readlane_b32 s82, v3, 16                                 // 000000007D7C: D2890052 00012103
	s_and_b32 s82, s82, 0xffffff                               // 000000007D84: 8652FF52 00FFFFFF
	s_cmp_lt_u32 s82, s66                                      // 000000007D8C: BF0A4252
	s_cselect_b32 s20, s36, s60                                // 000000007D90: 85143C24
	v_readlane_b32 s82, v3, 17                                 // 000000007D94: D2890052 00012303
	s_and_b32 s82, s82, 0xffffff                               // 000000007D9C: 8652FF52 00FFFFFF
	s_cmp_lt_u32 s82, s66                                      // 000000007DA4: BF0A4252
	s_cselect_b32 s21, s36, s60                                // 000000007DA8: 85153C24
	s_mov_b64 exec, s[20:21]                                   // 000000007DAC: BEFE0114
	global_atomic_add_f32 v6, v128, s[8:9]                     // 000000007DB0: DD348000 00088006
	global_atomic_add_f32 v6, v132, s[8:9] offset:256          // 000000007DB8: DD348100 00088406
	global_atomic_add_f32 v6, v136, s[8:9] offset:512          // 000000007DC0: DD348200 00088806
	global_atomic_add_f32 v6, v140, s[8:9] offset:768          // 000000007DC8: DD348300 00088C06
	s_mov_b64 exec, s[36:37]                                   // 000000007DD0: BEFE0124
	v_mov_b32_e32 v6, v57                                      // 000000007DD4: 7E0C0339
	s_mov_b64 s[60:61], 0                                      // 000000007DD8: BEBC0180
	v_readlane_b32 s82, v3, 18                                 // 000000007DDC: D2890052 00012503
	s_and_b32 s82, s82, 0xffffff                               // 000000007DE4: 8652FF52 00FFFFFF
	s_cmp_lt_u32 s82, s66                                      // 000000007DEC: BF0A4252
	s_cselect_b32 s20, s36, s60                                // 000000007DF0: 85143C24
	v_readlane_b32 s82, v3, 19                                 // 000000007DF4: D2890052 00012703
	s_and_b32 s82, s82, 0xffffff                               // 000000007DFC: 8652FF52 00FFFFFF
	s_cmp_lt_u32 s82, s66                                      // 000000007E04: BF0A4252
	s_cselect_b32 s21, s36, s60                                // 000000007E08: 85153C24
	s_mov_b64 exec, s[20:21]                                   // 000000007E0C: BEFE0114
	global_atomic_add_f32 v6, v129, s[8:9]                     // 000000007E10: DD348000 00088106
	global_atomic_add_f32 v6, v133, s[8:9] offset:256          // 000000007E18: DD348100 00088506
	global_atomic_add_f32 v6, v137, s[8:9] offset:512          // 000000007E20: DD348200 00088906
	global_atomic_add_f32 v6, v141, s[8:9] offset:768          // 000000007E28: DD348300 00088D06
	s_mov_b64 exec, s[36:37]                                   // 000000007E30: BEFE0124
	ds_write_b64 v20, v[66:67]                                 // 000000007E34: D89A0000 00004214
	ds_write_b64 v20, v[70:71] offset:8704                     // 000000007E3C: D89A2200 00004614
	ds_write_b64 v20, v[74:75] offset:17408                    // 000000007E44: D89A4400 00004A14
	ds_write_b64 v20, v[78:79] offset:26112                    // 000000007E4C: D89A6600 00004E14
	ds_write_b64 v20, v[82:83] offset:34816                    // 000000007E54: D89A8800 00005214
	ds_write_b64 v20, v[86:87] offset:2176                     // 000000007E5C: D89A0880 00005614
	ds_write_b64 v20, v[90:91] offset:10880                    // 000000007E64: D89A2A80 00005A14
	ds_write_b64 v20, v[94:95] offset:19584                    // 000000007E6C: D89A4C80 00005E14
	ds_write_b64 v20, v[98:99] offset:28288                    // 000000007E74: D89A6E80 00006214
	ds_write_b64 v20, v[102:103] offset:36992                  // 000000007E7C: D89A9080 00006614
	ds_write_b64 v20, v[106:107] offset:4352                   // 000000007E84: D89A1100 00006A14
	ds_write_b64 v20, v[110:111] offset:13056                  // 000000007E8C: D89A3300 00006E14
	ds_write_b64 v20, v[114:115] offset:21760                  // 000000007E94: D89A5500 00007214
	ds_write_b64 v20, v[118:119] offset:30464                  // 000000007E9C: D89A7700 00007614
	ds_write_b64 v20, v[122:123] offset:39168                  // 000000007EA4: D89A9900 00007A14
	ds_write_b64 v20, v[126:127] offset:6528                   // 000000007EAC: D89A1980 00007E14
	ds_write_b64 v20, v[130:131] offset:15232                  // 000000007EB4: D89A3B80 00008214
	ds_write_b64 v20, v[134:135] offset:23936                  // 000000007EBC: D89A5D80 00008614
	ds_write_b64 v20, v[138:139] offset:32640                  // 000000007EC4: D89A7F80 00008A14
	ds_write_b64 v20, v[142:143] offset:41344                  // 000000007ECC: D89AA180 00008E14
	s_waitcnt lgkmcnt(0)                                       // 000000007ED4: BF8CC07F
	s_barrier                                                  // 000000007ED8: BF8A0000
	ds_read_b32 v66, v21                                       // 000000007EDC: D86C0000 42000015
	ds_read_b32 v67, v21 offset:64                             // 000000007EE4: D86C0040 43000015
	ds_read_b32 v70, v21 offset:2176                           // 000000007EEC: D86C0880 46000015
	ds_read_b32 v71, v21 offset:2240                           // 000000007EF4: D86C08C0 47000015
	ds_read_b32 v74, v21 offset:4352                           // 000000007EFC: D86C1100 4A000015
	ds_read_b32 v75, v21 offset:4416                           // 000000007F04: D86C1140 4B000015
	ds_read_b32 v78, v21 offset:6528                           // 000000007F0C: D86C1980 4E000015
	ds_read_b32 v79, v21 offset:6592                           // 000000007F14: D86C19C0 4F000015
	ds_read_b32 v82, v21 offset:8704                           // 000000007F1C: D86C2200 52000015
	ds_read_b32 v83, v21 offset:8768                           // 000000007F24: D86C2240 53000015
	ds_read_b32 v86, v21 offset:10880                          // 000000007F2C: D86C2A80 56000015
	ds_read_b32 v87, v21 offset:10944                          // 000000007F34: D86C2AC0 57000015
	ds_read_b32 v90, v21 offset:13056                          // 000000007F3C: D86C3300 5A000015
	ds_read_b32 v91, v21 offset:13120                          // 000000007F44: D86C3340 5B000015
	ds_read_b32 v94, v21 offset:15232                          // 000000007F4C: D86C3B80 5E000015
	ds_read_b32 v95, v21 offset:15296                          // 000000007F54: D86C3BC0 5F000015
	ds_read_b32 v98, v21 offset:17408                          // 000000007F5C: D86C4400 62000015
	ds_read_b32 v99, v21 offset:17472                          // 000000007F64: D86C4440 63000015
	ds_read_b32 v102, v21 offset:19584                         // 000000007F6C: D86C4C80 66000015
	ds_read_b32 v103, v21 offset:19648                         // 000000007F74: D86C4CC0 67000015
	ds_read_b32 v106, v21 offset:21760                         // 000000007F7C: D86C5500 6A000015
	ds_read_b32 v107, v21 offset:21824                         // 000000007F84: D86C5540 6B000015
	ds_read_b32 v110, v21 offset:23936                         // 000000007F8C: D86C5D80 6E000015
	ds_read_b32 v111, v21 offset:24000                         // 000000007F94: D86C5DC0 6F000015
	ds_read_b32 v114, v21 offset:26112                         // 000000007F9C: D86C6600 72000015
	ds_read_b32 v115, v21 offset:26176                         // 000000007FA4: D86C6640 73000015
	ds_read_b32 v118, v21 offset:28288                         // 000000007FAC: D86C6E80 76000015
	ds_read_b32 v119, v21 offset:28352                         // 000000007FB4: D86C6EC0 77000015
	ds_read_b32 v122, v21 offset:30464                         // 000000007FBC: D86C7700 7A000015
	ds_read_b32 v123, v21 offset:30528                         // 000000007FC4: D86C7740 7B000015
	ds_read_b32 v126, v21 offset:32640                         // 000000007FCC: D86C7F80 7E000015
	ds_read_b32 v127, v21 offset:32704                         // 000000007FD4: D86C7FC0 7F000015
	ds_read_b32 v130, v21 offset:34816                         // 000000007FDC: D86C8800 82000015
	ds_read_b32 v131, v21 offset:34880                         // 000000007FE4: D86C8840 83000015
	ds_read_b32 v134, v21 offset:36992                         // 000000007FEC: D86C9080 86000015
	ds_read_b32 v135, v21 offset:37056                         // 000000007FF4: D86C90C0 87000015
	ds_read_b32 v138, v21 offset:39168                         // 000000007FFC: D86C9900 8A000015
	ds_read_b32 v139, v21 offset:39232                         // 000000008004: D86C9940 8B000015
	ds_read_b32 v142, v21 offset:41344                         // 00000000800C: D86CA180 8E000015
	ds_read_b32 v143, v21 offset:41408                         // 000000008014: D86CA1C0 8F000015
	s_waitcnt lgkmcnt(0)                                       // 00000000801C: BF8CC07F
	v_mov_b32_e32 v7, 0                                        // 000000008020: 7E0E0280
	s_mov_b64 exec, s[36:37]                                   // 000000008024: BEFE0124
	v_mov_b32_e32 v6, v48                                      // 000000008028: 7E0C0330
	s_mov_b64 s[60:61], 0                                      // 00000000802C: BEBC0180
	v_readlane_b32 s82, v3, 0                                  // 000000008030: D2890052 00010103
	s_and_b32 s82, s82, 0xffffff                               // 000000008038: 8652FF52 00FFFFFF
	s_cmp_lt_u32 s82, s66                                      // 000000008040: BF0A4252
	s_cselect_b32 s20, s36, s60                                // 000000008044: 85143C24
	v_readlane_b32 s82, v3, 1                                  // 000000008048: D2890052 00010303
	s_and_b32 s82, s82, 0xffffff                               // 000000008050: 8652FF52 00FFFFFF
	s_cmp_lt_u32 s82, s66                                      // 000000008058: BF0A4252
	s_cselect_b32 s21, s36, s60                                // 00000000805C: 85153C24
	s_mov_b64 exec, s[20:21]                                   // 000000008060: BEFE0114
	global_atomic_add_f32 v6, v66, s[8:9] offset:8             // 000000008064: DD348008 00084206
	global_atomic_add_f32 v6, v70, s[8:9] offset:264           // 00000000806C: DD348108 00084606
	global_atomic_add_f32 v6, v74, s[8:9] offset:520           // 000000008074: DD348208 00084A06
	global_atomic_add_f32 v6, v78, s[8:9] offset:776           // 00000000807C: DD348308 00084E06
	s_mov_b64 exec, s[36:37]                                   // 000000008084: BEFE0124
	v_mov_b32_e32 v6, v49                                      // 000000008088: 7E0C0331
	s_mov_b64 s[60:61], 0                                      // 00000000808C: BEBC0180
	v_readlane_b32 s82, v3, 2                                  // 000000008090: D2890052 00010503
	s_and_b32 s82, s82, 0xffffff                               // 000000008098: 8652FF52 00FFFFFF
	s_cmp_lt_u32 s82, s66                                      // 0000000080A0: BF0A4252
	s_cselect_b32 s20, s36, s60                                // 0000000080A4: 85143C24
	v_readlane_b32 s82, v3, 3                                  // 0000000080A8: D2890052 00010703
	s_and_b32 s82, s82, 0xffffff                               // 0000000080B0: 8652FF52 00FFFFFF
	s_cmp_lt_u32 s82, s66                                      // 0000000080B8: BF0A4252
	s_cselect_b32 s21, s36, s60                                // 0000000080BC: 85153C24
	s_mov_b64 exec, s[20:21]                                   // 0000000080C0: BEFE0114
	global_atomic_add_f32 v6, v67, s[8:9] offset:8             // 0000000080C4: DD348008 00084306
	global_atomic_add_f32 v6, v71, s[8:9] offset:264           // 0000000080CC: DD348108 00084706
	global_atomic_add_f32 v6, v75, s[8:9] offset:520           // 0000000080D4: DD348208 00084B06
	global_atomic_add_f32 v6, v79, s[8:9] offset:776           // 0000000080DC: DD348308 00084F06
	s_mov_b64 exec, s[36:37]                                   // 0000000080E4: BEFE0124
	v_mov_b32_e32 v6, v50                                      // 0000000080E8: 7E0C0332
	s_mov_b64 s[60:61], 0                                      // 0000000080EC: BEBC0180
	v_readlane_b32 s82, v3, 4                                  // 0000000080F0: D2890052 00010903
	s_and_b32 s82, s82, 0xffffff                               // 0000000080F8: 8652FF52 00FFFFFF
	s_cmp_lt_u32 s82, s66                                      // 000000008100: BF0A4252
	s_cselect_b32 s20, s36, s60                                // 000000008104: 85143C24
	v_readlane_b32 s82, v3, 5                                  // 000000008108: D2890052 00010B03
	s_and_b32 s82, s82, 0xffffff                               // 000000008110: 8652FF52 00FFFFFF
	s_cmp_lt_u32 s82, s66                                      // 000000008118: BF0A4252
	s_cselect_b32 s21, s36, s60                                // 00000000811C: 85153C24
	s_mov_b64 exec, s[20:21]                                   // 000000008120: BEFE0114
	global_atomic_add_f32 v6, v82, s[8:9] offset:8             // 000000008124: DD348008 00085206
	global_atomic_add_f32 v6, v86, s[8:9] offset:264           // 00000000812C: DD348108 00085606
	global_atomic_add_f32 v6, v90, s[8:9] offset:520           // 000000008134: DD348208 00085A06
	global_atomic_add_f32 v6, v94, s[8:9] offset:776           // 00000000813C: DD348308 00085E06
	s_mov_b64 exec, s[36:37]                                   // 000000008144: BEFE0124
	v_mov_b32_e32 v6, v51                                      // 000000008148: 7E0C0333
	s_mov_b64 s[60:61], 0                                      // 00000000814C: BEBC0180
	v_readlane_b32 s82, v3, 6                                  // 000000008150: D2890052 00010D03
	s_and_b32 s82, s82, 0xffffff                               // 000000008158: 8652FF52 00FFFFFF
	s_cmp_lt_u32 s82, s66                                      // 000000008160: BF0A4252
	s_cselect_b32 s20, s36, s60                                // 000000008164: 85143C24
	v_readlane_b32 s82, v3, 7                                  // 000000008168: D2890052 00010F03
	s_and_b32 s82, s82, 0xffffff                               // 000000008170: 8652FF52 00FFFFFF
	s_cmp_lt_u32 s82, s66                                      // 000000008178: BF0A4252
	s_cselect_b32 s21, s36, s60                                // 00000000817C: 85153C24
	s_mov_b64 exec, s[20:21]                                   // 000000008180: BEFE0114
	global_atomic_add_f32 v6, v83, s[8:9] offset:8             // 000000008184: DD348008 00085306
	global_atomic_add_f32 v6, v87, s[8:9] offset:264           // 00000000818C: DD348108 00085706
	global_atomic_add_f32 v6, v91, s[8:9] offset:520           // 000000008194: DD348208 00085B06
	global_atomic_add_f32 v6, v95, s[8:9] offset:776           // 00000000819C: DD348308 00085F06
	s_mov_b64 exec, s[36:37]                                   // 0000000081A4: BEFE0124
	v_mov_b32_e32 v6, v52                                      // 0000000081A8: 7E0C0334
	s_mov_b64 s[60:61], 0                                      // 0000000081AC: BEBC0180
	v_readlane_b32 s82, v3, 8                                  // 0000000081B0: D2890052 00011103
	s_and_b32 s82, s82, 0xffffff                               // 0000000081B8: 8652FF52 00FFFFFF
	s_cmp_lt_u32 s82, s66                                      // 0000000081C0: BF0A4252
	s_cselect_b32 s20, s36, s60                                // 0000000081C4: 85143C24
	v_readlane_b32 s82, v3, 9                                  // 0000000081C8: D2890052 00011303
	s_and_b32 s82, s82, 0xffffff                               // 0000000081D0: 8652FF52 00FFFFFF
	s_cmp_lt_u32 s82, s66                                      // 0000000081D8: BF0A4252
	s_cselect_b32 s21, s36, s60                                // 0000000081DC: 85153C24
	s_mov_b64 exec, s[20:21]                                   // 0000000081E0: BEFE0114
	global_atomic_add_f32 v6, v98, s[8:9] offset:8             // 0000000081E4: DD348008 00086206
	global_atomic_add_f32 v6, v102, s[8:9] offset:264          // 0000000081EC: DD348108 00086606
	global_atomic_add_f32 v6, v106, s[8:9] offset:520          // 0000000081F4: DD348208 00086A06
	global_atomic_add_f32 v6, v110, s[8:9] offset:776          // 0000000081FC: DD348308 00086E06
	s_mov_b64 exec, s[36:37]                                   // 000000008204: BEFE0124
	v_mov_b32_e32 v6, v53                                      // 000000008208: 7E0C0335
	s_mov_b64 s[60:61], 0                                      // 00000000820C: BEBC0180
	v_readlane_b32 s82, v3, 10                                 // 000000008210: D2890052 00011503
	s_and_b32 s82, s82, 0xffffff                               // 000000008218: 8652FF52 00FFFFFF
	s_cmp_lt_u32 s82, s66                                      // 000000008220: BF0A4252
	s_cselect_b32 s20, s36, s60                                // 000000008224: 85143C24
	v_readlane_b32 s82, v3, 11                                 // 000000008228: D2890052 00011703
	s_and_b32 s82, s82, 0xffffff                               // 000000008230: 8652FF52 00FFFFFF
	s_cmp_lt_u32 s82, s66                                      // 000000008238: BF0A4252
	s_cselect_b32 s21, s36, s60                                // 00000000823C: 85153C24
	s_mov_b64 exec, s[20:21]                                   // 000000008240: BEFE0114
	global_atomic_add_f32 v6, v99, s[8:9] offset:8             // 000000008244: DD348008 00086306
	global_atomic_add_f32 v6, v103, s[8:9] offset:264          // 00000000824C: DD348108 00086706
	global_atomic_add_f32 v6, v107, s[8:9] offset:520          // 000000008254: DD348208 00086B06
	global_atomic_add_f32 v6, v111, s[8:9] offset:776          // 00000000825C: DD348308 00086F06
	s_mov_b64 exec, s[36:37]                                   // 000000008264: BEFE0124
	v_mov_b32_e32 v6, v54                                      // 000000008268: 7E0C0336
	s_mov_b64 s[60:61], 0                                      // 00000000826C: BEBC0180
	v_readlane_b32 s82, v3, 12                                 // 000000008270: D2890052 00011903
	s_and_b32 s82, s82, 0xffffff                               // 000000008278: 8652FF52 00FFFFFF
	s_cmp_lt_u32 s82, s66                                      // 000000008280: BF0A4252
	s_cselect_b32 s20, s36, s60                                // 000000008284: 85143C24
	v_readlane_b32 s82, v3, 13                                 // 000000008288: D2890052 00011B03
	s_and_b32 s82, s82, 0xffffff                               // 000000008290: 8652FF52 00FFFFFF
	s_cmp_lt_u32 s82, s66                                      // 000000008298: BF0A4252
	s_cselect_b32 s21, s36, s60                                // 00000000829C: 85153C24
	s_mov_b64 exec, s[20:21]                                   // 0000000082A0: BEFE0114
	global_atomic_add_f32 v6, v114, s[8:9] offset:8            // 0000000082A4: DD348008 00087206
	global_atomic_add_f32 v6, v118, s[8:9] offset:264          // 0000000082AC: DD348108 00087606
	global_atomic_add_f32 v6, v122, s[8:9] offset:520          // 0000000082B4: DD348208 00087A06
	global_atomic_add_f32 v6, v126, s[8:9] offset:776          // 0000000082BC: DD348308 00087E06
	s_mov_b64 exec, s[36:37]                                   // 0000000082C4: BEFE0124
	v_mov_b32_e32 v6, v55                                      // 0000000082C8: 7E0C0337
	s_mov_b64 s[60:61], 0                                      // 0000000082CC: BEBC0180
	v_readlane_b32 s82, v3, 14                                 // 0000000082D0: D2890052 00011D03
	s_and_b32 s82, s82, 0xffffff                               // 0000000082D8: 8652FF52 00FFFFFF
	s_cmp_lt_u32 s82, s66                                      // 0000000082E0: BF0A4252
	s_cselect_b32 s20, s36, s60                                // 0000000082E4: 85143C24
	v_readlane_b32 s82, v3, 15                                 // 0000000082E8: D2890052 00011F03
	s_and_b32 s82, s82, 0xffffff                               // 0000000082F0: 8652FF52 00FFFFFF
	s_cmp_lt_u32 s82, s66                                      // 0000000082F8: BF0A4252
	s_cselect_b32 s21, s36, s60                                // 0000000082FC: 85153C24
	s_mov_b64 exec, s[20:21]                                   // 000000008300: BEFE0114
	global_atomic_add_f32 v6, v115, s[8:9] offset:8            // 000000008304: DD348008 00087306
	global_atomic_add_f32 v6, v119, s[8:9] offset:264          // 00000000830C: DD348108 00087706
	global_atomic_add_f32 v6, v123, s[8:9] offset:520          // 000000008314: DD348208 00087B06
	global_atomic_add_f32 v6, v127, s[8:9] offset:776          // 00000000831C: DD348308 00087F06
	s_mov_b64 exec, s[36:37]                                   // 000000008324: BEFE0124
	v_mov_b32_e32 v6, v56                                      // 000000008328: 7E0C0338
	s_mov_b64 s[60:61], 0                                      // 00000000832C: BEBC0180
	v_readlane_b32 s82, v3, 16                                 // 000000008330: D2890052 00012103
	s_and_b32 s82, s82, 0xffffff                               // 000000008338: 8652FF52 00FFFFFF
	s_cmp_lt_u32 s82, s66                                      // 000000008340: BF0A4252
	s_cselect_b32 s20, s36, s60                                // 000000008344: 85143C24
	v_readlane_b32 s82, v3, 17                                 // 000000008348: D2890052 00012303
	s_and_b32 s82, s82, 0xffffff                               // 000000008350: 8652FF52 00FFFFFF
	s_cmp_lt_u32 s82, s66                                      // 000000008358: BF0A4252
	s_cselect_b32 s21, s36, s60                                // 00000000835C: 85153C24
	s_mov_b64 exec, s[20:21]                                   // 000000008360: BEFE0114
	global_atomic_add_f32 v6, v130, s[8:9] offset:8            // 000000008364: DD348008 00088206
	global_atomic_add_f32 v6, v134, s[8:9] offset:264          // 00000000836C: DD348108 00088606
	global_atomic_add_f32 v6, v138, s[8:9] offset:520          // 000000008374: DD348208 00088A06
	global_atomic_add_f32 v6, v142, s[8:9] offset:776          // 00000000837C: DD348308 00088E06
	s_mov_b64 exec, s[36:37]                                   // 000000008384: BEFE0124
	v_mov_b32_e32 v6, v57                                      // 000000008388: 7E0C0339
	s_mov_b64 s[60:61], 0                                      // 00000000838C: BEBC0180
	v_readlane_b32 s82, v3, 18                                 // 000000008390: D2890052 00012503
	s_and_b32 s82, s82, 0xffffff                               // 000000008398: 8652FF52 00FFFFFF
	s_cmp_lt_u32 s82, s66                                      // 0000000083A0: BF0A4252
	s_cselect_b32 s20, s36, s60                                // 0000000083A4: 85143C24
	v_readlane_b32 s82, v3, 19                                 // 0000000083A8: D2890052 00012703
	s_and_b32 s82, s82, 0xffffff                               // 0000000083B0: 8652FF52 00FFFFFF
	s_cmp_lt_u32 s82, s66                                      // 0000000083B8: BF0A4252
	s_cselect_b32 s21, s36, s60                                // 0000000083BC: 85153C24
	s_mov_b64 exec, s[20:21]                                   // 0000000083C0: BEFE0114
	global_atomic_add_f32 v6, v131, s[8:9] offset:8            // 0000000083C4: DD348008 00088306
	global_atomic_add_f32 v6, v135, s[8:9] offset:264          // 0000000083CC: DD348108 00088706
	global_atomic_add_f32 v6, v139, s[8:9] offset:520          // 0000000083D4: DD348208 00088B06
	global_atomic_add_f32 v6, v143, s[8:9] offset:776          // 0000000083DC: DD348308 00088F06
	s_mov_b64 exec, s[36:37]                                   // 0000000083E4: BEFE0124
	ds_write_b64 v20, v[144:145]                               // 0000000083E8: D89A0000 00009014
	ds_write_b64 v20, v[148:149] offset:8704                   // 0000000083F0: D89A2200 00009414
	ds_write_b64 v20, v[152:153] offset:17408                  // 0000000083F8: D89A4400 00009814
	ds_write_b64 v20, v[156:157] offset:26112                  // 000000008400: D89A6600 00009C14
	ds_write_b64 v20, v[160:161] offset:34816                  // 000000008408: D89A8800 0000A014
	ds_write_b64 v20, v[164:165] offset:2176                   // 000000008410: D89A0880 0000A414
	ds_write_b64 v20, v[168:169] offset:10880                  // 000000008418: D89A2A80 0000A814
	ds_write_b64 v20, v[172:173] offset:19584                  // 000000008420: D89A4C80 0000AC14
	ds_write_b64 v20, v[176:177] offset:28288                  // 000000008428: D89A6E80 0000B014
	ds_write_b64 v20, v[180:181] offset:36992                  // 000000008430: D89A9080 0000B414
	ds_write_b64 v20, v[184:185] offset:4352                   // 000000008438: D89A1100 0000B814
	ds_write_b64 v20, v[188:189] offset:13056                  // 000000008440: D89A3300 0000BC14
	ds_write_b64 v20, v[192:193] offset:21760                  // 000000008448: D89A5500 0000C014
	ds_write_b64 v20, v[196:197] offset:30464                  // 000000008450: D89A7700 0000C414
	ds_write_b64 v20, v[200:201] offset:39168                  // 000000008458: D89A9900 0000C814
	ds_write_b64 v20, v[204:205] offset:6528                   // 000000008460: D89A1980 0000CC14
	ds_write_b64 v20, v[208:209] offset:15232                  // 000000008468: D89A3B80 0000D014
	ds_write_b64 v20, v[212:213] offset:23936                  // 000000008470: D89A5D80 0000D414
	ds_write_b64 v20, v[216:217] offset:32640                  // 000000008478: D89A7F80 0000D814
	ds_write_b64 v20, v[220:221] offset:41344                  // 000000008480: D89AA180 0000DC14
	s_waitcnt lgkmcnt(0)                                       // 000000008488: BF8CC07F
	s_barrier                                                  // 00000000848C: BF8A0000
	ds_read_b32 v144, v21                                      // 000000008490: D86C0000 90000015
	ds_read_b32 v145, v21 offset:64                            // 000000008498: D86C0040 91000015
	ds_read_b32 v148, v21 offset:2176                          // 0000000084A0: D86C0880 94000015
	ds_read_b32 v149, v21 offset:2240                          // 0000000084A8: D86C08C0 95000015
	ds_read_b32 v152, v21 offset:4352                          // 0000000084B0: D86C1100 98000015
	ds_read_b32 v153, v21 offset:4416                          // 0000000084B8: D86C1140 99000015
	ds_read_b32 v156, v21 offset:6528                          // 0000000084C0: D86C1980 9C000015
	ds_read_b32 v157, v21 offset:6592                          // 0000000084C8: D86C19C0 9D000015
	ds_read_b32 v160, v21 offset:8704                          // 0000000084D0: D86C2200 A0000015
	ds_read_b32 v161, v21 offset:8768                          // 0000000084D8: D86C2240 A1000015
	ds_read_b32 v164, v21 offset:10880                         // 0000000084E0: D86C2A80 A4000015
	ds_read_b32 v165, v21 offset:10944                         // 0000000084E8: D86C2AC0 A5000015
	ds_read_b32 v168, v21 offset:13056                         // 0000000084F0: D86C3300 A8000015
	ds_read_b32 v169, v21 offset:13120                         // 0000000084F8: D86C3340 A9000015
	ds_read_b32 v172, v21 offset:15232                         // 000000008500: D86C3B80 AC000015
	ds_read_b32 v173, v21 offset:15296                         // 000000008508: D86C3BC0 AD000015
	ds_read_b32 v176, v21 offset:17408                         // 000000008510: D86C4400 B0000015
	ds_read_b32 v177, v21 offset:17472                         // 000000008518: D86C4440 B1000015
	ds_read_b32 v180, v21 offset:19584                         // 000000008520: D86C4C80 B4000015
	ds_read_b32 v181, v21 offset:19648                         // 000000008528: D86C4CC0 B5000015
	ds_read_b32 v184, v21 offset:21760                         // 000000008530: D86C5500 B8000015
	ds_read_b32 v185, v21 offset:21824                         // 000000008538: D86C5540 B9000015
	ds_read_b32 v188, v21 offset:23936                         // 000000008540: D86C5D80 BC000015
	ds_read_b32 v189, v21 offset:24000                         // 000000008548: D86C5DC0 BD000015
	ds_read_b32 v192, v21 offset:26112                         // 000000008550: D86C6600 C0000015
	ds_read_b32 v193, v21 offset:26176                         // 000000008558: D86C6640 C1000015
	ds_read_b32 v196, v21 offset:28288                         // 000000008560: D86C6E80 C4000015
	ds_read_b32 v197, v21 offset:28352                         // 000000008568: D86C6EC0 C5000015
	ds_read_b32 v200, v21 offset:30464                         // 000000008570: D86C7700 C8000015
	ds_read_b32 v201, v21 offset:30528                         // 000000008578: D86C7740 C9000015
	ds_read_b32 v204, v21 offset:32640                         // 000000008580: D86C7F80 CC000015
	ds_read_b32 v205, v21 offset:32704                         // 000000008588: D86C7FC0 CD000015
	ds_read_b32 v208, v21 offset:34816                         // 000000008590: D86C8800 D0000015
	ds_read_b32 v209, v21 offset:34880                         // 000000008598: D86C8840 D1000015
	ds_read_b32 v212, v21 offset:36992                         // 0000000085A0: D86C9080 D4000015
	ds_read_b32 v213, v21 offset:37056                         // 0000000085A8: D86C90C0 D5000015
	ds_read_b32 v216, v21 offset:39168                         // 0000000085B0: D86C9900 D8000015
	ds_read_b32 v217, v21 offset:39232                         // 0000000085B8: D86C9940 D9000015
	ds_read_b32 v220, v21 offset:41344                         // 0000000085C0: D86CA180 DC000015
	ds_read_b32 v221, v21 offset:41408                         // 0000000085C8: D86CA1C0 DD000015
	s_mul_i32 s60, s65, 4                                      // 0000000085D0: 923C8441
	s_add_u32 s8, s60, s8                                      // 0000000085D4: 8008083C
	s_addc_u32 s9, 0, s9                                       // 0000000085D8: 82090980
	s_waitcnt lgkmcnt(0)                                       // 0000000085DC: BF8CC07F
	v_mov_b32_e32 v7, 0                                        // 0000000085E0: 7E0E0280
	s_mov_b64 exec, s[36:37]                                   // 0000000085E4: BEFE0124
	v_mov_b32_e32 v6, v48                                      // 0000000085E8: 7E0C0330
	s_mov_b64 s[60:61], 0                                      // 0000000085EC: BEBC0180
	v_readlane_b32 s82, v3, 0                                  // 0000000085F0: D2890052 00010103
	s_and_b32 s82, s82, 0xffffff                               // 0000000085F8: 8652FF52 00FFFFFF
	s_cmp_lt_u32 s82, s66                                      // 000000008600: BF0A4252
	s_cselect_b32 s20, s36, s60                                // 000000008604: 85143C24
	v_readlane_b32 s82, v3, 1                                  // 000000008608: D2890052 00010303
	s_and_b32 s82, s82, 0xffffff                               // 000000008610: 8652FF52 00FFFFFF
	s_cmp_lt_u32 s82, s66                                      // 000000008618: BF0A4252
	s_cselect_b32 s21, s36, s60                                // 00000000861C: 85153C24
	s_mov_b64 exec, s[20:21]                                   // 000000008620: BEFE0114
	global_atomic_add_f32 v6, v144, s[8:9]                     // 000000008624: DD348000 00089006
	global_atomic_add_f32 v6, v148, s[8:9] offset:256          // 00000000862C: DD348100 00089406
	global_atomic_add_f32 v6, v152, s[8:9] offset:512          // 000000008634: DD348200 00089806
	global_atomic_add_f32 v6, v156, s[8:9] offset:768          // 00000000863C: DD348300 00089C06
	s_mov_b64 exec, s[36:37]                                   // 000000008644: BEFE0124
	v_mov_b32_e32 v6, v49                                      // 000000008648: 7E0C0331
	s_mov_b64 s[60:61], 0                                      // 00000000864C: BEBC0180
	v_readlane_b32 s82, v3, 2                                  // 000000008650: D2890052 00010503
	s_and_b32 s82, s82, 0xffffff                               // 000000008658: 8652FF52 00FFFFFF
	s_cmp_lt_u32 s82, s66                                      // 000000008660: BF0A4252
	s_cselect_b32 s20, s36, s60                                // 000000008664: 85143C24
	v_readlane_b32 s82, v3, 3                                  // 000000008668: D2890052 00010703
	s_and_b32 s82, s82, 0xffffff                               // 000000008670: 8652FF52 00FFFFFF
	s_cmp_lt_u32 s82, s66                                      // 000000008678: BF0A4252
	s_cselect_b32 s21, s36, s60                                // 00000000867C: 85153C24
	s_mov_b64 exec, s[20:21]                                   // 000000008680: BEFE0114
	global_atomic_add_f32 v6, v145, s[8:9]                     // 000000008684: DD348000 00089106
	global_atomic_add_f32 v6, v149, s[8:9] offset:256          // 00000000868C: DD348100 00089506
	global_atomic_add_f32 v6, v153, s[8:9] offset:512          // 000000008694: DD348200 00089906
	global_atomic_add_f32 v6, v157, s[8:9] offset:768          // 00000000869C: DD348300 00089D06
	s_mov_b64 exec, s[36:37]                                   // 0000000086A4: BEFE0124
	v_mov_b32_e32 v6, v50                                      // 0000000086A8: 7E0C0332
	s_mov_b64 s[60:61], 0                                      // 0000000086AC: BEBC0180
	v_readlane_b32 s82, v3, 4                                  // 0000000086B0: D2890052 00010903
	s_and_b32 s82, s82, 0xffffff                               // 0000000086B8: 8652FF52 00FFFFFF
	s_cmp_lt_u32 s82, s66                                      // 0000000086C0: BF0A4252
	s_cselect_b32 s20, s36, s60                                // 0000000086C4: 85143C24
	v_readlane_b32 s82, v3, 5                                  // 0000000086C8: D2890052 00010B03
	s_and_b32 s82, s82, 0xffffff                               // 0000000086D0: 8652FF52 00FFFFFF
	s_cmp_lt_u32 s82, s66                                      // 0000000086D8: BF0A4252
	s_cselect_b32 s21, s36, s60                                // 0000000086DC: 85153C24
	s_mov_b64 exec, s[20:21]                                   // 0000000086E0: BEFE0114
	global_atomic_add_f32 v6, v160, s[8:9]                     // 0000000086E4: DD348000 0008A006
	global_atomic_add_f32 v6, v164, s[8:9] offset:256          // 0000000086EC: DD348100 0008A406
	global_atomic_add_f32 v6, v168, s[8:9] offset:512          // 0000000086F4: DD348200 0008A806
	global_atomic_add_f32 v6, v172, s[8:9] offset:768          // 0000000086FC: DD348300 0008AC06
	s_mov_b64 exec, s[36:37]                                   // 000000008704: BEFE0124
	v_mov_b32_e32 v6, v51                                      // 000000008708: 7E0C0333
	s_mov_b64 s[60:61], 0                                      // 00000000870C: BEBC0180
	v_readlane_b32 s82, v3, 6                                  // 000000008710: D2890052 00010D03
	s_and_b32 s82, s82, 0xffffff                               // 000000008718: 8652FF52 00FFFFFF
	s_cmp_lt_u32 s82, s66                                      // 000000008720: BF0A4252
	s_cselect_b32 s20, s36, s60                                // 000000008724: 85143C24
	v_readlane_b32 s82, v3, 7                                  // 000000008728: D2890052 00010F03
	s_and_b32 s82, s82, 0xffffff                               // 000000008730: 8652FF52 00FFFFFF
	s_cmp_lt_u32 s82, s66                                      // 000000008738: BF0A4252
	s_cselect_b32 s21, s36, s60                                // 00000000873C: 85153C24
	s_mov_b64 exec, s[20:21]                                   // 000000008740: BEFE0114
	global_atomic_add_f32 v6, v161, s[8:9]                     // 000000008744: DD348000 0008A106
	global_atomic_add_f32 v6, v165, s[8:9] offset:256          // 00000000874C: DD348100 0008A506
	global_atomic_add_f32 v6, v169, s[8:9] offset:512          // 000000008754: DD348200 0008A906
	global_atomic_add_f32 v6, v173, s[8:9] offset:768          // 00000000875C: DD348300 0008AD06
	s_mov_b64 exec, s[36:37]                                   // 000000008764: BEFE0124
	v_mov_b32_e32 v6, v52                                      // 000000008768: 7E0C0334
	s_mov_b64 s[60:61], 0                                      // 00000000876C: BEBC0180
	v_readlane_b32 s82, v3, 8                                  // 000000008770: D2890052 00011103
	s_and_b32 s82, s82, 0xffffff                               // 000000008778: 8652FF52 00FFFFFF
	s_cmp_lt_u32 s82, s66                                      // 000000008780: BF0A4252
	s_cselect_b32 s20, s36, s60                                // 000000008784: 85143C24
	v_readlane_b32 s82, v3, 9                                  // 000000008788: D2890052 00011303
	s_and_b32 s82, s82, 0xffffff                               // 000000008790: 8652FF52 00FFFFFF
	s_cmp_lt_u32 s82, s66                                      // 000000008798: BF0A4252
	s_cselect_b32 s21, s36, s60                                // 00000000879C: 85153C24
	s_mov_b64 exec, s[20:21]                                   // 0000000087A0: BEFE0114
	global_atomic_add_f32 v6, v176, s[8:9]                     // 0000000087A4: DD348000 0008B006
	global_atomic_add_f32 v6, v180, s[8:9] offset:256          // 0000000087AC: DD348100 0008B406
	global_atomic_add_f32 v6, v184, s[8:9] offset:512          // 0000000087B4: DD348200 0008B806
	global_atomic_add_f32 v6, v188, s[8:9] offset:768          // 0000000087BC: DD348300 0008BC06
	s_mov_b64 exec, s[36:37]                                   // 0000000087C4: BEFE0124
	v_mov_b32_e32 v6, v53                                      // 0000000087C8: 7E0C0335
	s_mov_b64 s[60:61], 0                                      // 0000000087CC: BEBC0180
	v_readlane_b32 s82, v3, 10                                 // 0000000087D0: D2890052 00011503
	s_and_b32 s82, s82, 0xffffff                               // 0000000087D8: 8652FF52 00FFFFFF
	s_cmp_lt_u32 s82, s66                                      // 0000000087E0: BF0A4252
	s_cselect_b32 s20, s36, s60                                // 0000000087E4: 85143C24
	v_readlane_b32 s82, v3, 11                                 // 0000000087E8: D2890052 00011703
	s_and_b32 s82, s82, 0xffffff                               // 0000000087F0: 8652FF52 00FFFFFF
	s_cmp_lt_u32 s82, s66                                      // 0000000087F8: BF0A4252
	s_cselect_b32 s21, s36, s60                                // 0000000087FC: 85153C24
	s_mov_b64 exec, s[20:21]                                   // 000000008800: BEFE0114
	global_atomic_add_f32 v6, v177, s[8:9]                     // 000000008804: DD348000 0008B106
	global_atomic_add_f32 v6, v181, s[8:9] offset:256          // 00000000880C: DD348100 0008B506
	global_atomic_add_f32 v6, v185, s[8:9] offset:512          // 000000008814: DD348200 0008B906
	global_atomic_add_f32 v6, v189, s[8:9] offset:768          // 00000000881C: DD348300 0008BD06
	s_mov_b64 exec, s[36:37]                                   // 000000008824: BEFE0124
	v_mov_b32_e32 v6, v54                                      // 000000008828: 7E0C0336
	s_mov_b64 s[60:61], 0                                      // 00000000882C: BEBC0180
	v_readlane_b32 s82, v3, 12                                 // 000000008830: D2890052 00011903
	s_and_b32 s82, s82, 0xffffff                               // 000000008838: 8652FF52 00FFFFFF
	s_cmp_lt_u32 s82, s66                                      // 000000008840: BF0A4252
	s_cselect_b32 s20, s36, s60                                // 000000008844: 85143C24
	v_readlane_b32 s82, v3, 13                                 // 000000008848: D2890052 00011B03
	s_and_b32 s82, s82, 0xffffff                               // 000000008850: 8652FF52 00FFFFFF
	s_cmp_lt_u32 s82, s66                                      // 000000008858: BF0A4252
	s_cselect_b32 s21, s36, s60                                // 00000000885C: 85153C24
	s_mov_b64 exec, s[20:21]                                   // 000000008860: BEFE0114
	global_atomic_add_f32 v6, v192, s[8:9]                     // 000000008864: DD348000 0008C006
	global_atomic_add_f32 v6, v196, s[8:9] offset:256          // 00000000886C: DD348100 0008C406
	global_atomic_add_f32 v6, v200, s[8:9] offset:512          // 000000008874: DD348200 0008C806
	global_atomic_add_f32 v6, v204, s[8:9] offset:768          // 00000000887C: DD348300 0008CC06
	s_mov_b64 exec, s[36:37]                                   // 000000008884: BEFE0124
	v_mov_b32_e32 v6, v55                                      // 000000008888: 7E0C0337
	s_mov_b64 s[60:61], 0                                      // 00000000888C: BEBC0180
	v_readlane_b32 s82, v3, 14                                 // 000000008890: D2890052 00011D03
	s_and_b32 s82, s82, 0xffffff                               // 000000008898: 8652FF52 00FFFFFF
	s_cmp_lt_u32 s82, s66                                      // 0000000088A0: BF0A4252
	s_cselect_b32 s20, s36, s60                                // 0000000088A4: 85143C24
	v_readlane_b32 s82, v3, 15                                 // 0000000088A8: D2890052 00011F03
	s_and_b32 s82, s82, 0xffffff                               // 0000000088B0: 8652FF52 00FFFFFF
	s_cmp_lt_u32 s82, s66                                      // 0000000088B8: BF0A4252
	s_cselect_b32 s21, s36, s60                                // 0000000088BC: 85153C24
	s_mov_b64 exec, s[20:21]                                   // 0000000088C0: BEFE0114
	global_atomic_add_f32 v6, v193, s[8:9]                     // 0000000088C4: DD348000 0008C106
	global_atomic_add_f32 v6, v197, s[8:9] offset:256          // 0000000088CC: DD348100 0008C506
	global_atomic_add_f32 v6, v201, s[8:9] offset:512          // 0000000088D4: DD348200 0008C906
	global_atomic_add_f32 v6, v205, s[8:9] offset:768          // 0000000088DC: DD348300 0008CD06
	s_mov_b64 exec, s[36:37]                                   // 0000000088E4: BEFE0124
	v_mov_b32_e32 v6, v56                                      // 0000000088E8: 7E0C0338
	s_mov_b64 s[60:61], 0                                      // 0000000088EC: BEBC0180
	v_readlane_b32 s82, v3, 16                                 // 0000000088F0: D2890052 00012103
	s_and_b32 s82, s82, 0xffffff                               // 0000000088F8: 8652FF52 00FFFFFF
	s_cmp_lt_u32 s82, s66                                      // 000000008900: BF0A4252
	s_cselect_b32 s20, s36, s60                                // 000000008904: 85143C24
	v_readlane_b32 s82, v3, 17                                 // 000000008908: D2890052 00012303
	s_and_b32 s82, s82, 0xffffff                               // 000000008910: 8652FF52 00FFFFFF
	s_cmp_lt_u32 s82, s66                                      // 000000008918: BF0A4252
	s_cselect_b32 s21, s36, s60                                // 00000000891C: 85153C24
	s_mov_b64 exec, s[20:21]                                   // 000000008920: BEFE0114
	global_atomic_add_f32 v6, v208, s[8:9]                     // 000000008924: DD348000 0008D006
	global_atomic_add_f32 v6, v212, s[8:9] offset:256          // 00000000892C: DD348100 0008D406
	global_atomic_add_f32 v6, v216, s[8:9] offset:512          // 000000008934: DD348200 0008D806
	global_atomic_add_f32 v6, v220, s[8:9] offset:768          // 00000000893C: DD348300 0008DC06
	s_mov_b64 exec, s[36:37]                                   // 000000008944: BEFE0124
	v_mov_b32_e32 v6, v57                                      // 000000008948: 7E0C0339
	s_mov_b64 s[60:61], 0                                      // 00000000894C: BEBC0180
	v_readlane_b32 s82, v3, 18                                 // 000000008950: D2890052 00012503
	s_and_b32 s82, s82, 0xffffff                               // 000000008958: 8652FF52 00FFFFFF
	s_cmp_lt_u32 s82, s66                                      // 000000008960: BF0A4252
	s_cselect_b32 s20, s36, s60                                // 000000008964: 85143C24
	v_readlane_b32 s82, v3, 19                                 // 000000008968: D2890052 00012703
	s_and_b32 s82, s82, 0xffffff                               // 000000008970: 8652FF52 00FFFFFF
	s_cmp_lt_u32 s82, s66                                      // 000000008978: BF0A4252
	s_cselect_b32 s21, s36, s60                                // 00000000897C: 85153C24
	s_mov_b64 exec, s[20:21]                                   // 000000008980: BEFE0114
	global_atomic_add_f32 v6, v209, s[8:9]                     // 000000008984: DD348000 0008D106
	global_atomic_add_f32 v6, v213, s[8:9] offset:256          // 00000000898C: DD348100 0008D506
	global_atomic_add_f32 v6, v217, s[8:9] offset:512          // 000000008994: DD348200 0008D906
	global_atomic_add_f32 v6, v221, s[8:9] offset:768          // 00000000899C: DD348300 0008DD06
	s_mov_b64 exec, s[36:37]                                   // 0000000089A4: BEFE0124
	ds_write_b64 v20, v[146:147]                               // 0000000089A8: D89A0000 00009214
	ds_write_b64 v20, v[150:151] offset:8704                   // 0000000089B0: D89A2200 00009614
	ds_write_b64 v20, v[154:155] offset:17408                  // 0000000089B8: D89A4400 00009A14
	ds_write_b64 v20, v[158:159] offset:26112                  // 0000000089C0: D89A6600 00009E14
	ds_write_b64 v20, v[162:163] offset:34816                  // 0000000089C8: D89A8800 0000A214
	ds_write_b64 v20, v[166:167] offset:2176                   // 0000000089D0: D89A0880 0000A614
	ds_write_b64 v20, v[170:171] offset:10880                  // 0000000089D8: D89A2A80 0000AA14
	ds_write_b64 v20, v[174:175] offset:19584                  // 0000000089E0: D89A4C80 0000AE14
	ds_write_b64 v20, v[178:179] offset:28288                  // 0000000089E8: D89A6E80 0000B214
	ds_write_b64 v20, v[182:183] offset:36992                  // 0000000089F0: D89A9080 0000B614
	ds_write_b64 v20, v[186:187] offset:4352                   // 0000000089F8: D89A1100 0000BA14
	ds_write_b64 v20, v[190:191] offset:13056                  // 000000008A00: D89A3300 0000BE14
	ds_write_b64 v20, v[194:195] offset:21760                  // 000000008A08: D89A5500 0000C214
	ds_write_b64 v20, v[198:199] offset:30464                  // 000000008A10: D89A7700 0000C614
	ds_write_b64 v20, v[202:203] offset:39168                  // 000000008A18: D89A9900 0000CA14
	ds_write_b64 v20, v[206:207] offset:6528                   // 000000008A20: D89A1980 0000CE14
	ds_write_b64 v20, v[210:211] offset:15232                  // 000000008A28: D89A3B80 0000D214
	ds_write_b64 v20, v[214:215] offset:23936                  // 000000008A30: D89A5D80 0000D614
	ds_write_b64 v20, v[218:219] offset:32640                  // 000000008A38: D89A7F80 0000DA14
	ds_write_b64 v20, v[222:223] offset:41344                  // 000000008A40: D89AA180 0000DE14
	s_waitcnt lgkmcnt(0)                                       // 000000008A48: BF8CC07F
	s_barrier                                                  // 000000008A4C: BF8A0000
	ds_read_b32 v146, v21                                      // 000000008A50: D86C0000 92000015
	ds_read_b32 v147, v21 offset:64                            // 000000008A58: D86C0040 93000015
	ds_read_b32 v150, v21 offset:2176                          // 000000008A60: D86C0880 96000015
	ds_read_b32 v151, v21 offset:2240                          // 000000008A68: D86C08C0 97000015
	ds_read_b32 v154, v21 offset:4352                          // 000000008A70: D86C1100 9A000015
	ds_read_b32 v155, v21 offset:4416                          // 000000008A78: D86C1140 9B000015
	ds_read_b32 v158, v21 offset:6528                          // 000000008A80: D86C1980 9E000015
	ds_read_b32 v159, v21 offset:6592                          // 000000008A88: D86C19C0 9F000015
	ds_read_b32 v162, v21 offset:8704                          // 000000008A90: D86C2200 A2000015
	ds_read_b32 v163, v21 offset:8768                          // 000000008A98: D86C2240 A3000015
	ds_read_b32 v166, v21 offset:10880                         // 000000008AA0: D86C2A80 A6000015
	ds_read_b32 v167, v21 offset:10944                         // 000000008AA8: D86C2AC0 A7000015
	ds_read_b32 v170, v21 offset:13056                         // 000000008AB0: D86C3300 AA000015
	ds_read_b32 v171, v21 offset:13120                         // 000000008AB8: D86C3340 AB000015
	ds_read_b32 v174, v21 offset:15232                         // 000000008AC0: D86C3B80 AE000015
	ds_read_b32 v175, v21 offset:15296                         // 000000008AC8: D86C3BC0 AF000015
	ds_read_b32 v178, v21 offset:17408                         // 000000008AD0: D86C4400 B2000015
	ds_read_b32 v179, v21 offset:17472                         // 000000008AD8: D86C4440 B3000015
	ds_read_b32 v182, v21 offset:19584                         // 000000008AE0: D86C4C80 B6000015
	ds_read_b32 v183, v21 offset:19648                         // 000000008AE8: D86C4CC0 B7000015
	ds_read_b32 v186, v21 offset:21760                         // 000000008AF0: D86C5500 BA000015
	ds_read_b32 v187, v21 offset:21824                         // 000000008AF8: D86C5540 BB000015
	ds_read_b32 v190, v21 offset:23936                         // 000000008B00: D86C5D80 BE000015
	ds_read_b32 v191, v21 offset:24000                         // 000000008B08: D86C5DC0 BF000015
	ds_read_b32 v194, v21 offset:26112                         // 000000008B10: D86C6600 C2000015
	ds_read_b32 v195, v21 offset:26176                         // 000000008B18: D86C6640 C3000015
	ds_read_b32 v198, v21 offset:28288                         // 000000008B20: D86C6E80 C6000015
	ds_read_b32 v199, v21 offset:28352                         // 000000008B28: D86C6EC0 C7000015
	ds_read_b32 v202, v21 offset:30464                         // 000000008B30: D86C7700 CA000015
	ds_read_b32 v203, v21 offset:30528                         // 000000008B38: D86C7740 CB000015
	ds_read_b32 v206, v21 offset:32640                         // 000000008B40: D86C7F80 CE000015
	ds_read_b32 v207, v21 offset:32704                         // 000000008B48: D86C7FC0 CF000015
	ds_read_b32 v210, v21 offset:34816                         // 000000008B50: D86C8800 D2000015
	ds_read_b32 v211, v21 offset:34880                         // 000000008B58: D86C8840 D3000015
	ds_read_b32 v214, v21 offset:36992                         // 000000008B60: D86C9080 D6000015
	ds_read_b32 v215, v21 offset:37056                         // 000000008B68: D86C90C0 D7000015
	ds_read_b32 v218, v21 offset:39168                         // 000000008B70: D86C9900 DA000015
	ds_read_b32 v219, v21 offset:39232                         // 000000008B78: D86C9940 DB000015
	ds_read_b32 v222, v21 offset:41344                         // 000000008B80: D86CA180 DE000015
	ds_read_b32 v223, v21 offset:41408                         // 000000008B88: D86CA1C0 DF000015
	s_waitcnt lgkmcnt(0)                                       // 000000008B90: BF8CC07F
	v_mov_b32_e32 v7, 0                                        // 000000008B94: 7E0E0280
	s_mov_b64 exec, s[36:37]                                   // 000000008B98: BEFE0124
	v_mov_b32_e32 v6, v48                                      // 000000008B9C: 7E0C0330
	s_mov_b64 s[60:61], 0                                      // 000000008BA0: BEBC0180
	v_readlane_b32 s82, v3, 0                                  // 000000008BA4: D2890052 00010103
	s_and_b32 s82, s82, 0xffffff                               // 000000008BAC: 8652FF52 00FFFFFF
	s_cmp_lt_u32 s82, s66                                      // 000000008BB4: BF0A4252
	s_cselect_b32 s20, s36, s60                                // 000000008BB8: 85143C24
	v_readlane_b32 s82, v3, 1                                  // 000000008BBC: D2890052 00010303
	s_and_b32 s82, s82, 0xffffff                               // 000000008BC4: 8652FF52 00FFFFFF
	s_cmp_lt_u32 s82, s66                                      // 000000008BCC: BF0A4252
	s_cselect_b32 s21, s36, s60                                // 000000008BD0: 85153C24
	s_mov_b64 exec, s[20:21]                                   // 000000008BD4: BEFE0114
	global_atomic_add_f32 v6, v146, s[8:9] offset:8            // 000000008BD8: DD348008 00089206
	global_atomic_add_f32 v6, v150, s[8:9] offset:264          // 000000008BE0: DD348108 00089606
	global_atomic_add_f32 v6, v154, s[8:9] offset:520          // 000000008BE8: DD348208 00089A06
	global_atomic_add_f32 v6, v158, s[8:9] offset:776          // 000000008BF0: DD348308 00089E06
	s_mov_b64 exec, s[36:37]                                   // 000000008BF8: BEFE0124
	v_mov_b32_e32 v6, v49                                      // 000000008BFC: 7E0C0331
	s_mov_b64 s[60:61], 0                                      // 000000008C00: BEBC0180
	v_readlane_b32 s82, v3, 2                                  // 000000008C04: D2890052 00010503
	s_and_b32 s82, s82, 0xffffff                               // 000000008C0C: 8652FF52 00FFFFFF
	s_cmp_lt_u32 s82, s66                                      // 000000008C14: BF0A4252
	s_cselect_b32 s20, s36, s60                                // 000000008C18: 85143C24
	v_readlane_b32 s82, v3, 3                                  // 000000008C1C: D2890052 00010703
	s_and_b32 s82, s82, 0xffffff                               // 000000008C24: 8652FF52 00FFFFFF
	s_cmp_lt_u32 s82, s66                                      // 000000008C2C: BF0A4252
	s_cselect_b32 s21, s36, s60                                // 000000008C30: 85153C24
	s_mov_b64 exec, s[20:21]                                   // 000000008C34: BEFE0114
	global_atomic_add_f32 v6, v147, s[8:9] offset:8            // 000000008C38: DD348008 00089306
	global_atomic_add_f32 v6, v151, s[8:9] offset:264          // 000000008C40: DD348108 00089706
	global_atomic_add_f32 v6, v155, s[8:9] offset:520          // 000000008C48: DD348208 00089B06
	global_atomic_add_f32 v6, v159, s[8:9] offset:776          // 000000008C50: DD348308 00089F06
	s_mov_b64 exec, s[36:37]                                   // 000000008C58: BEFE0124
	v_mov_b32_e32 v6, v50                                      // 000000008C5C: 7E0C0332
	s_mov_b64 s[60:61], 0                                      // 000000008C60: BEBC0180
	v_readlane_b32 s82, v3, 4                                  // 000000008C64: D2890052 00010903
	s_and_b32 s82, s82, 0xffffff                               // 000000008C6C: 8652FF52 00FFFFFF
	s_cmp_lt_u32 s82, s66                                      // 000000008C74: BF0A4252
	s_cselect_b32 s20, s36, s60                                // 000000008C78: 85143C24
	v_readlane_b32 s82, v3, 5                                  // 000000008C7C: D2890052 00010B03
	s_and_b32 s82, s82, 0xffffff                               // 000000008C84: 8652FF52 00FFFFFF
	s_cmp_lt_u32 s82, s66                                      // 000000008C8C: BF0A4252
	s_cselect_b32 s21, s36, s60                                // 000000008C90: 85153C24
	s_mov_b64 exec, s[20:21]                                   // 000000008C94: BEFE0114
	global_atomic_add_f32 v6, v162, s[8:9] offset:8            // 000000008C98: DD348008 0008A206
	global_atomic_add_f32 v6, v166, s[8:9] offset:264          // 000000008CA0: DD348108 0008A606
	global_atomic_add_f32 v6, v170, s[8:9] offset:520          // 000000008CA8: DD348208 0008AA06
	global_atomic_add_f32 v6, v174, s[8:9] offset:776          // 000000008CB0: DD348308 0008AE06
	s_mov_b64 exec, s[36:37]                                   // 000000008CB8: BEFE0124
	v_mov_b32_e32 v6, v51                                      // 000000008CBC: 7E0C0333
	s_mov_b64 s[60:61], 0                                      // 000000008CC0: BEBC0180
	v_readlane_b32 s82, v3, 6                                  // 000000008CC4: D2890052 00010D03
	s_and_b32 s82, s82, 0xffffff                               // 000000008CCC: 8652FF52 00FFFFFF
	s_cmp_lt_u32 s82, s66                                      // 000000008CD4: BF0A4252
	s_cselect_b32 s20, s36, s60                                // 000000008CD8: 85143C24
	v_readlane_b32 s82, v3, 7                                  // 000000008CDC: D2890052 00010F03
	s_and_b32 s82, s82, 0xffffff                               // 000000008CE4: 8652FF52 00FFFFFF
	s_cmp_lt_u32 s82, s66                                      // 000000008CEC: BF0A4252
	s_cselect_b32 s21, s36, s60                                // 000000008CF0: 85153C24
	s_mov_b64 exec, s[20:21]                                   // 000000008CF4: BEFE0114
	global_atomic_add_f32 v6, v163, s[8:9] offset:8            // 000000008CF8: DD348008 0008A306
	global_atomic_add_f32 v6, v167, s[8:9] offset:264          // 000000008D00: DD348108 0008A706
	global_atomic_add_f32 v6, v171, s[8:9] offset:520          // 000000008D08: DD348208 0008AB06
	global_atomic_add_f32 v6, v175, s[8:9] offset:776          // 000000008D10: DD348308 0008AF06
	s_mov_b64 exec, s[36:37]                                   // 000000008D18: BEFE0124
	v_mov_b32_e32 v6, v52                                      // 000000008D1C: 7E0C0334
	s_mov_b64 s[60:61], 0                                      // 000000008D20: BEBC0180
	v_readlane_b32 s82, v3, 8                                  // 000000008D24: D2890052 00011103
	s_and_b32 s82, s82, 0xffffff                               // 000000008D2C: 8652FF52 00FFFFFF
	s_cmp_lt_u32 s82, s66                                      // 000000008D34: BF0A4252
	s_cselect_b32 s20, s36, s60                                // 000000008D38: 85143C24
	v_readlane_b32 s82, v3, 9                                  // 000000008D3C: D2890052 00011303
	s_and_b32 s82, s82, 0xffffff                               // 000000008D44: 8652FF52 00FFFFFF
	s_cmp_lt_u32 s82, s66                                      // 000000008D4C: BF0A4252
	s_cselect_b32 s21, s36, s60                                // 000000008D50: 85153C24
	s_mov_b64 exec, s[20:21]                                   // 000000008D54: BEFE0114
	global_atomic_add_f32 v6, v178, s[8:9] offset:8            // 000000008D58: DD348008 0008B206
	global_atomic_add_f32 v6, v182, s[8:9] offset:264          // 000000008D60: DD348108 0008B606
	global_atomic_add_f32 v6, v186, s[8:9] offset:520          // 000000008D68: DD348208 0008BA06
	global_atomic_add_f32 v6, v190, s[8:9] offset:776          // 000000008D70: DD348308 0008BE06
	s_mov_b64 exec, s[36:37]                                   // 000000008D78: BEFE0124
	v_mov_b32_e32 v6, v53                                      // 000000008D7C: 7E0C0335
	s_mov_b64 s[60:61], 0                                      // 000000008D80: BEBC0180
	v_readlane_b32 s82, v3, 10                                 // 000000008D84: D2890052 00011503
	s_and_b32 s82, s82, 0xffffff                               // 000000008D8C: 8652FF52 00FFFFFF
	s_cmp_lt_u32 s82, s66                                      // 000000008D94: BF0A4252
	s_cselect_b32 s20, s36, s60                                // 000000008D98: 85143C24
	v_readlane_b32 s82, v3, 11                                 // 000000008D9C: D2890052 00011703
	s_and_b32 s82, s82, 0xffffff                               // 000000008DA4: 8652FF52 00FFFFFF
	s_cmp_lt_u32 s82, s66                                      // 000000008DAC: BF0A4252
	s_cselect_b32 s21, s36, s60                                // 000000008DB0: 85153C24
	s_mov_b64 exec, s[20:21]                                   // 000000008DB4: BEFE0114
	global_atomic_add_f32 v6, v179, s[8:9] offset:8            // 000000008DB8: DD348008 0008B306
	global_atomic_add_f32 v6, v183, s[8:9] offset:264          // 000000008DC0: DD348108 0008B706
	global_atomic_add_f32 v6, v187, s[8:9] offset:520          // 000000008DC8: DD348208 0008BB06
	global_atomic_add_f32 v6, v191, s[8:9] offset:776          // 000000008DD0: DD348308 0008BF06
	s_mov_b64 exec, s[36:37]                                   // 000000008DD8: BEFE0124
	v_mov_b32_e32 v6, v54                                      // 000000008DDC: 7E0C0336
	s_mov_b64 s[60:61], 0                                      // 000000008DE0: BEBC0180
	v_readlane_b32 s82, v3, 12                                 // 000000008DE4: D2890052 00011903
	s_and_b32 s82, s82, 0xffffff                               // 000000008DEC: 8652FF52 00FFFFFF
	s_cmp_lt_u32 s82, s66                                      // 000000008DF4: BF0A4252
	s_cselect_b32 s20, s36, s60                                // 000000008DF8: 85143C24
	v_readlane_b32 s82, v3, 13                                 // 000000008DFC: D2890052 00011B03
	s_and_b32 s82, s82, 0xffffff                               // 000000008E04: 8652FF52 00FFFFFF
	s_cmp_lt_u32 s82, s66                                      // 000000008E0C: BF0A4252
	s_cselect_b32 s21, s36, s60                                // 000000008E10: 85153C24
	s_mov_b64 exec, s[20:21]                                   // 000000008E14: BEFE0114
	global_atomic_add_f32 v6, v194, s[8:9] offset:8            // 000000008E18: DD348008 0008C206
	global_atomic_add_f32 v6, v198, s[8:9] offset:264          // 000000008E20: DD348108 0008C606
	global_atomic_add_f32 v6, v202, s[8:9] offset:520          // 000000008E28: DD348208 0008CA06
	global_atomic_add_f32 v6, v206, s[8:9] offset:776          // 000000008E30: DD348308 0008CE06
	s_mov_b64 exec, s[36:37]                                   // 000000008E38: BEFE0124
	v_mov_b32_e32 v6, v55                                      // 000000008E3C: 7E0C0337
	s_mov_b64 s[60:61], 0                                      // 000000008E40: BEBC0180
	v_readlane_b32 s82, v3, 14                                 // 000000008E44: D2890052 00011D03
	s_and_b32 s82, s82, 0xffffff                               // 000000008E4C: 8652FF52 00FFFFFF
	s_cmp_lt_u32 s82, s66                                      // 000000008E54: BF0A4252
	s_cselect_b32 s20, s36, s60                                // 000000008E58: 85143C24
	v_readlane_b32 s82, v3, 15                                 // 000000008E5C: D2890052 00011F03
	s_and_b32 s82, s82, 0xffffff                               // 000000008E64: 8652FF52 00FFFFFF
	s_cmp_lt_u32 s82, s66                                      // 000000008E6C: BF0A4252
	s_cselect_b32 s21, s36, s60                                // 000000008E70: 85153C24
	s_mov_b64 exec, s[20:21]                                   // 000000008E74: BEFE0114
	global_atomic_add_f32 v6, v195, s[8:9] offset:8            // 000000008E78: DD348008 0008C306
	global_atomic_add_f32 v6, v199, s[8:9] offset:264          // 000000008E80: DD348108 0008C706
	global_atomic_add_f32 v6, v203, s[8:9] offset:520          // 000000008E88: DD348208 0008CB06
	global_atomic_add_f32 v6, v207, s[8:9] offset:776          // 000000008E90: DD348308 0008CF06
	s_mov_b64 exec, s[36:37]                                   // 000000008E98: BEFE0124
	v_mov_b32_e32 v6, v56                                      // 000000008E9C: 7E0C0338
	s_mov_b64 s[60:61], 0                                      // 000000008EA0: BEBC0180
	v_readlane_b32 s82, v3, 16                                 // 000000008EA4: D2890052 00012103
	s_and_b32 s82, s82, 0xffffff                               // 000000008EAC: 8652FF52 00FFFFFF
	s_cmp_lt_u32 s82, s66                                      // 000000008EB4: BF0A4252
	s_cselect_b32 s20, s36, s60                                // 000000008EB8: 85143C24
	v_readlane_b32 s82, v3, 17                                 // 000000008EBC: D2890052 00012303
	s_and_b32 s82, s82, 0xffffff                               // 000000008EC4: 8652FF52 00FFFFFF
	s_cmp_lt_u32 s82, s66                                      // 000000008ECC: BF0A4252
	s_cselect_b32 s21, s36, s60                                // 000000008ED0: 85153C24
	s_mov_b64 exec, s[20:21]                                   // 000000008ED4: BEFE0114
	global_atomic_add_f32 v6, v210, s[8:9] offset:8            // 000000008ED8: DD348008 0008D206
	global_atomic_add_f32 v6, v214, s[8:9] offset:264          // 000000008EE0: DD348108 0008D606
	global_atomic_add_f32 v6, v218, s[8:9] offset:520          // 000000008EE8: DD348208 0008DA06
	global_atomic_add_f32 v6, v222, s[8:9] offset:776          // 000000008EF0: DD348308 0008DE06
	s_mov_b64 exec, s[36:37]                                   // 000000008EF8: BEFE0124
	v_mov_b32_e32 v6, v57                                      // 000000008EFC: 7E0C0339
	s_mov_b64 s[60:61], 0                                      // 000000008F00: BEBC0180
	v_readlane_b32 s82, v3, 18                                 // 000000008F04: D2890052 00012503
	s_and_b32 s82, s82, 0xffffff                               // 000000008F0C: 8652FF52 00FFFFFF
	s_cmp_lt_u32 s82, s66                                      // 000000008F14: BF0A4252
	s_cselect_b32 s20, s36, s60                                // 000000008F18: 85143C24
	v_readlane_b32 s82, v3, 19                                 // 000000008F1C: D2890052 00012703
	s_and_b32 s82, s82, 0xffffff                               // 000000008F24: 8652FF52 00FFFFFF
	s_cmp_lt_u32 s82, s66                                      // 000000008F2C: BF0A4252
	s_cselect_b32 s21, s36, s60                                // 000000008F30: 85153C24
	s_mov_b64 exec, s[20:21]                                   // 000000008F34: BEFE0114
	global_atomic_add_f32 v6, v211, s[8:9] offset:8            // 000000008F38: DD348008 0008D306
	global_atomic_add_f32 v6, v215, s[8:9] offset:264          // 000000008F40: DD348108 0008D706
	global_atomic_add_f32 v6, v219, s[8:9] offset:520          // 000000008F48: DD348208 0008DB06
	global_atomic_add_f32 v6, v223, s[8:9] offset:776          // 000000008F50: DD348308 0008DF06
	s_mov_b64 exec, s[36:37]                                   // 000000008F58: BEFE0124
	s_branch label_2F94                                        // 000000008F5C: BF821639

0000000000008f60 <label_195B>:
	s_waitcnt vmcnt(6) lgkmcnt(0)                              // 000000008F60: BF8C0076
	s_barrier                                                  // 000000008F64: BF8A0000
	v_mfma_f32_16x16x32_fp8_fp8 v[64:67], a[80:81], a[0:1], v[64:67]// 000000008F68: D3F30040 1D020150
	buffer_load_dwordx4 a[112:115], v58, s[84:87], 0 offen     // 000000008F70: E05C1000 8095703A
	v_mfma_f32_16x16x32_fp8_fp8 v[64:67], a[82:83], a[2:3], v[64:67]// 000000008F78: D3F30040 1D020552
	v_mfma_f32_16x16x32_fp8_fp8 v[64:67], a[84:85], a[4:5], v[64:67]// 000000008F80: D3F30040 1D020954
	v_mfma_f32_16x16x32_fp8_fp8 v[64:67], a[86:87], a[6:7], v[64:67]// 000000008F88: D3F30040 1D020D56
	v_mfma_f32_16x16x32_fp8_fp8 v[68:71], a[80:81], a[8:9], v[68:71]// 000000008F90: D3F30044 1D121150
	buffer_load_dwordx4 a[116:119], v58, s[84:87], 0 offen offset:1024// 000000008F98: E05C1400 8095743A
	v_mfma_f32_16x16x32_fp8_fp8 v[68:71], a[82:83], a[10:11], v[68:71]// 000000008FA0: D3F30044 1D121552
	v_mfma_f32_16x16x32_fp8_fp8 v[68:71], a[84:85], a[12:13], v[68:71]// 000000008FA8: D3F30044 1D121954
	v_mfma_f32_16x16x32_fp8_fp8 v[68:71], a[86:87], a[14:15], v[68:71]// 000000008FB0: D3F30044 1D121D56
	v_mfma_f32_16x16x32_fp8_fp8 v[72:75], a[80:81], a[16:17], v[72:75]// 000000008FB8: D3F30048 1D222150
	buffer_load_dwordx4 a[120:123], v59, s[84:87], 0 offen     // 000000008FC0: E05C1000 8095783B
	v_mfma_f32_16x16x32_fp8_fp8 v[72:75], a[82:83], a[18:19], v[72:75]// 000000008FC8: D3F30048 1D222552
	v_mfma_f32_16x16x32_fp8_fp8 v[72:75], a[84:85], a[20:21], v[72:75]// 000000008FD0: D3F30048 1D222954
	v_mfma_f32_16x16x32_fp8_fp8 v[72:75], a[86:87], a[22:23], v[72:75]// 000000008FD8: D3F30048 1D222D56
	v_mfma_f32_16x16x32_fp8_fp8 v[76:79], a[80:81], a[24:25], v[76:79]// 000000008FE0: D3F3004C 1D323150
	buffer_load_dwordx4 a[124:127], v59, s[84:87], 0 offen offset:1024// 000000008FE8: E05C1400 80957C3B
	v_mfma_f32_16x16x32_fp8_fp8 v[76:79], a[82:83], a[26:27], v[76:79]// 000000008FF0: D3F3004C 1D323552
	v_mfma_f32_16x16x32_fp8_fp8 v[76:79], a[84:85], a[28:29], v[76:79]// 000000008FF8: D3F3004C 1D323954
	v_mfma_f32_16x16x32_fp8_fp8 v[76:79], a[86:87], a[30:31], v[76:79]// 000000009000: D3F3004C 1D323D56
	v_mfma_f32_16x16x32_fp8_fp8 v[80:83], a[80:81], a[32:33], v[80:83]// 000000009008: D3F30050 1D424150
	buffer_load_dwordx4 a[128:131], v60, s[84:87], 0 offen     // 000000009010: E05C1000 8095803C
	v_mfma_f32_16x16x32_fp8_fp8 v[80:83], a[82:83], a[34:35], v[80:83]// 000000009018: D3F30050 1D424552
	v_mfma_f32_16x16x32_fp8_fp8 v[80:83], a[84:85], a[36:37], v[80:83]// 000000009020: D3F30050 1D424954
	v_mfma_f32_16x16x32_fp8_fp8 v[80:83], a[86:87], a[38:39], v[80:83]// 000000009028: D3F30050 1D424D56
	s_waitcnt vmcnt(9)                                         // 000000009030: BF8C0F79
	v_mfma_f32_16x16x32_fp8_fp8 v[84:87], a[88:89], a[0:1], v[84:87]// 000000009034: D3F30054 1D520158
	buffer_load_dwordx4 a[132:135], v60, s[84:87], 0 offen offset:1024// 00000000903C: E05C1400 8095843C
	v_mfma_f32_16x16x32_fp8_fp8 v[84:87], a[90:91], a[2:3], v[84:87]// 000000009044: D3F30054 1D52055A
	v_mfma_f32_16x16x32_fp8_fp8 v[84:87], a[92:93], a[4:5], v[84:87]// 00000000904C: D3F30054 1D52095C
	v_mfma_f32_16x16x32_fp8_fp8 v[84:87], a[94:95], a[6:7], v[84:87]// 000000009054: D3F30054 1D520D5E
	v_mfma_f32_16x16x32_fp8_fp8 v[88:91], a[88:89], a[8:9], v[88:91]// 00000000905C: D3F30058 1D621158
	buffer_load_dwordx4 a[136:139], v61, s[84:87], 0 offen     // 000000009064: E05C1000 8095883D
	v_mfma_f32_16x16x32_fp8_fp8 v[88:91], a[90:91], a[10:11], v[88:91]// 00000000906C: D3F30058 1D62155A
	v_mfma_f32_16x16x32_fp8_fp8 v[88:91], a[92:93], a[12:13], v[88:91]// 000000009074: D3F30058 1D62195C
	v_mfma_f32_16x16x32_fp8_fp8 v[88:91], a[94:95], a[14:15], v[88:91]// 00000000907C: D3F30058 1D621D5E
	v_mfma_f32_16x16x32_fp8_fp8 v[92:95], a[88:89], a[16:17], v[92:95]// 000000009084: D3F3005C 1D722158
	buffer_load_dwordx4 a[140:143], v61, s[84:87], 0 offen offset:1024// 00000000908C: E05C1400 80958C3D
	buffer_load_dword v48, s[20:23], 0 offen lds               // 000000009094: E0511000 80050030
	s_add_u32 m0, 0x100, s48                                   // 00000000909C: 807C30FF 00000100
	v_mfma_f32_16x16x32_fp8_fp8 v[92:95], a[90:91], a[18:19], v[92:95]// 0000000090A4: D3F3005C 1D72255A
	v_mfma_f32_16x16x32_fp8_fp8 v[92:95], a[92:93], a[20:21], v[92:95]// 0000000090AC: D3F3005C 1D72295C
	buffer_load_dword v49, s[20:23], 0 offen lds               // 0000000090B4: E0511000 80050031
	s_add_u32 m0, 0x200, s48                                   // 0000000090BC: 807C30FF 00000200
	v_mfma_f32_16x16x32_fp8_fp8 v[92:95], a[94:95], a[22:23], v[92:95]// 0000000090C4: D3F3005C 1D722D5E
	v_mfma_f32_16x16x32_fp8_fp8 v[96:99], a[88:89], a[24:25], v[96:99]// 0000000090CC: D3F30060 1D823158
	buffer_load_dword v50, s[20:23], 0 offen lds               // 0000000090D4: E0511000 80050032
	s_add_u32 m0, 0x300, s48                                   // 0000000090DC: 807C30FF 00000300
	v_mfma_f32_16x16x32_fp8_fp8 v[96:99], a[90:91], a[26:27], v[96:99]// 0000000090E4: D3F30060 1D82355A
	v_mfma_f32_16x16x32_fp8_fp8 v[96:99], a[92:93], a[28:29], v[96:99]// 0000000090EC: D3F30060 1D82395C
	buffer_load_dword v51, s[20:23], 0 offen lds               // 0000000090F4: E0511000 80050033
	s_add_u32 m0, 0x400, s48                                   // 0000000090FC: 807C30FF 00000400
	v_mfma_f32_16x16x32_fp8_fp8 v[96:99], a[94:95], a[30:31], v[96:99]// 000000009104: D3F30060 1D823D5E
	v_mfma_f32_16x16x32_fp8_fp8 v[100:103], a[88:89], a[32:33], v[100:103]// 00000000910C: D3F30064 1D924158
	buffer_load_dword v52, s[20:23], 0 offen lds               // 000000009114: E0511000 80050034
	s_add_u32 m0, 0x500, s48                                   // 00000000911C: 807C30FF 00000500
	v_mfma_f32_16x16x32_fp8_fp8 v[100:103], a[90:91], a[34:35], v[100:103]// 000000009124: D3F30064 1D92455A
	v_mfma_f32_16x16x32_fp8_fp8 v[100:103], a[92:93], a[36:37], v[100:103]// 00000000912C: D3F30064 1D92495C
	buffer_load_dword v53, s[20:23], 0 offen lds               // 000000009134: E0511000 80050035
	s_add_u32 m0, 0x600, s48                                   // 00000000913C: 807C30FF 00000600
	v_mfma_f32_16x16x32_fp8_fp8 v[100:103], a[94:95], a[38:39], v[100:103]// 000000009144: D3F30064 1D924D5E
	s_waitcnt vmcnt(16)                                        // 00000000914C: BF8C4F70
	v_mfma_f32_16x16x32_fp8_fp8 v[104:107], a[96:97], a[0:1], v[104:107]// 000000009150: D3F30068 1DA20160
	buffer_load_dword v54, s[20:23], 0 offen lds               // 000000009158: E0511000 80050036
	s_add_u32 m0, 0x700, s48                                   // 000000009160: 807C30FF 00000700
	v_mfma_f32_16x16x32_fp8_fp8 v[104:107], a[98:99], a[2:3], v[104:107]// 000000009168: D3F30068 1DA20562
	v_mfma_f32_16x16x32_fp8_fp8 v[104:107], a[100:101], a[4:5], v[104:107]// 000000009170: D3F30068 1DA20964
	buffer_load_dword v55, s[20:23], 0 offen lds               // 000000009178: E0511000 80050037
	s_add_u32 m0, 0x800, s48                                   // 000000009180: 807C30FF 00000800
	v_mfma_f32_16x16x32_fp8_fp8 v[104:107], a[102:103], a[6:7], v[104:107]// 000000009188: D3F30068 1DA20D66
	v_mfma_f32_16x16x32_fp8_fp8 v[108:111], a[96:97], a[8:9], v[108:111]// 000000009190: D3F3006C 1DB21160
	buffer_load_dword v56, s[20:23], 0 offen lds               // 000000009198: E0511000 80050038
	s_add_u32 m0, 0x900, s48                                   // 0000000091A0: 807C30FF 00000900
	v_mfma_f32_16x16x32_fp8_fp8 v[108:111], a[98:99], a[10:11], v[108:111]// 0000000091A8: D3F3006C 1DB21562
	v_mfma_f32_16x16x32_fp8_fp8 v[108:111], a[100:101], a[12:13], v[108:111]// 0000000091B0: D3F3006C 1DB21964
	buffer_load_dword v57, s[20:23], 0 offen lds               // 0000000091B8: E0511000 80050039
	s_add_u32 m0, 0, s49                                       // 0000000091C0: 807C3180
	v_mfma_f32_16x16x32_fp8_fp8 v[108:111], a[102:103], a[14:15], v[108:111]// 0000000091C4: D3F3006C 1DB21D66
	v_mfma_f32_16x16x32_fp8_fp8 v[112:115], a[96:97], a[16:17], v[112:115]// 0000000091CC: D3F30070 1DC22160
	v_mfma_f32_16x16x32_fp8_fp8 v[112:115], a[98:99], a[18:19], v[112:115]// 0000000091D4: D3F30070 1DC22562
	v_mfma_f32_16x16x32_fp8_fp8 v[112:115], a[100:101], a[20:21], v[112:115]// 0000000091DC: D3F30070 1DC22964
	v_mfma_f32_16x16x32_fp8_fp8 v[112:115], a[102:103], a[22:23], v[112:115]// 0000000091E4: D3F30070 1DC22D66
	v_mfma_f32_16x16x32_fp8_fp8 v[116:119], a[96:97], a[24:25], v[116:119]// 0000000091EC: D3F30074 1DD23160
	v_mfma_f32_16x16x32_fp8_fp8 v[116:119], a[98:99], a[26:27], v[116:119]// 0000000091F4: D3F30074 1DD23562
	v_mfma_f32_16x16x32_fp8_fp8 v[116:119], a[100:101], a[28:29], v[116:119]// 0000000091FC: D3F30074 1DD23964
	v_mfma_f32_16x16x32_fp8_fp8 v[116:119], a[102:103], a[30:31], v[116:119]// 000000009204: D3F30074 1DD23D66
	v_mfma_f32_16x16x32_fp8_fp8 v[120:123], a[96:97], a[32:33], v[120:123]// 00000000920C: D3F30078 1DE24160
	v_mfma_f32_16x16x32_fp8_fp8 v[120:123], a[98:99], a[34:35], v[120:123]// 000000009214: D3F30078 1DE24562
	v_mfma_f32_16x16x32_fp8_fp8 v[120:123], a[100:101], a[36:37], v[120:123]// 00000000921C: D3F30078 1DE24964
	v_mfma_f32_16x16x32_fp8_fp8 v[120:123], a[102:103], a[38:39], v[120:123]// 000000009224: D3F30078 1DE24D66
	s_waitcnt vmcnt(18)                                        // 00000000922C: BF8C4F72
	v_mfma_f32_16x16x32_fp8_fp8 v[124:127], a[104:105], a[0:1], v[124:127]// 000000009230: D3F3007C 1DF20168
	v_mfma_f32_16x16x32_fp8_fp8 v[124:127], a[106:107], a[2:3], v[124:127]// 000000009238: D3F3007C 1DF2056A
	v_mfma_f32_16x16x32_fp8_fp8 v[124:127], a[108:109], a[4:5], v[124:127]// 000000009240: D3F3007C 1DF2096C
	v_mfma_f32_16x16x32_fp8_fp8 v[124:127], a[110:111], a[6:7], v[124:127]// 000000009248: D3F3007C 1DF20D6E
	v_mfma_f32_16x16x32_fp8_fp8 v[128:131], a[104:105], a[8:9], v[128:131]// 000000009250: D3F30080 1E021168
	v_mfma_f32_16x16x32_fp8_fp8 v[128:131], a[106:107], a[10:11], v[128:131]// 000000009258: D3F30080 1E02156A
	v_mfma_f32_16x16x32_fp8_fp8 v[128:131], a[108:109], a[12:13], v[128:131]// 000000009260: D3F30080 1E02196C
	v_mfma_f32_16x16x32_fp8_fp8 v[128:131], a[110:111], a[14:15], v[128:131]// 000000009268: D3F30080 1E021D6E
	v_mfma_f32_16x16x32_fp8_fp8 v[132:135], a[104:105], a[16:17], v[132:135]// 000000009270: D3F30084 1E122168
	v_mfma_f32_16x16x32_fp8_fp8 v[132:135], a[106:107], a[18:19], v[132:135]// 000000009278: D3F30084 1E12256A
	v_mfma_f32_16x16x32_fp8_fp8 v[132:135], a[108:109], a[20:21], v[132:135]// 000000009280: D3F30084 1E12296C
	v_mfma_f32_16x16x32_fp8_fp8 v[132:135], a[110:111], a[22:23], v[132:135]// 000000009288: D3F30084 1E122D6E
	v_mfma_f32_16x16x32_fp8_fp8 v[136:139], a[104:105], a[24:25], v[136:139]// 000000009290: D3F30088 1E223168
	v_mfma_f32_16x16x32_fp8_fp8 v[136:139], a[106:107], a[26:27], v[136:139]// 000000009298: D3F30088 1E22356A
	v_mfma_f32_16x16x32_fp8_fp8 v[136:139], a[108:109], a[28:29], v[136:139]// 0000000092A0: D3F30088 1E22396C
	v_mfma_f32_16x16x32_fp8_fp8 v[136:139], a[110:111], a[30:31], v[136:139]// 0000000092A8: D3F30088 1E223D6E
	v_mfma_f32_16x16x32_fp8_fp8 v[140:143], a[104:105], a[32:33], v[140:143]// 0000000092B0: D3F3008C 1E324168
	v_mfma_f32_16x16x32_fp8_fp8 v[140:143], a[106:107], a[34:35], v[140:143]// 0000000092B8: D3F3008C 1E32456A
	s_add_u32 s60, 0x80, s80                                   // 0000000092C0: 803C50FF 00000080
	s_cmp_lt_u32 s60, s81                                      // 0000000092C8: BF0A513C
	s_cselect_b32 s83, s83, 0                                  // 0000000092CC: 85538053
	v_mfma_f32_16x16x32_fp8_fp8 v[140:143], a[108:109], a[36:37], v[140:143]// 0000000092D0: D3F3008C 1E32496C
	v_mfma_f32_16x16x32_fp8_fp8 v[140:143], a[110:111], a[38:39], v[140:143]// 0000000092D8: D3F3008C 1E324D6E
	s_waitcnt vmcnt(10)                                        // 0000000092E0: BF8C0F7A
	v_mfma_f32_16x16x32_fp8_fp8 v[144:147], a[112:113], a[0:1], v[144:147]// 0000000092E4: D3F30090 1E420170
	buffer_load_dwordx4 a[80:83], v58, s[24:27], 0 offen       // 0000000092EC: E05C1000 8086503A
	v_mfma_f32_16x16x32_fp8_fp8 v[144:147], a[114:115], a[2:3], v[144:147]// 0000000092F4: D3F30090 1E420572
	v_mfma_f32_16x16x32_fp8_fp8 v[144:147], a[116:117], a[4:5], v[144:147]// 0000000092FC: D3F30090 1E420974
	ds_read_b128 a[40:43], v2 offset:10368                     // 000000009304: DBFE2880 28000002
	ds_read_b128 a[44:47], v2 offset:10432                     // 00000000930C: DBFE28C0 2C000002
	v_mfma_f32_16x16x32_fp8_fp8 v[144:147], a[118:119], a[6:7], v[144:147]// 000000009314: D3F30090 1E420D76
	v_mfma_f32_16x16x32_fp8_fp8 v[164:167], a[120:121], a[0:1], v[164:167]// 00000000931C: D3F300A4 1E920178
	buffer_load_dwordx4 a[84:87], v58, s[24:27], 0 offen offset:1024// 000000009324: E05C1400 8086543A
	v_mfma_f32_16x16x32_fp8_fp8 v[164:167], a[122:123], a[2:3], v[164:167]// 00000000932C: D3F300A4 1E92057A
	v_mfma_f32_16x16x32_fp8_fp8 v[164:167], a[124:125], a[4:5], v[164:167]// 000000009334: D3F300A4 1E92097C
	ds_read_b128 a[48:51], v2 offset:10880                     // 00000000933C: DBFE2A80 30000002
	ds_read_b128 a[52:55], v2 offset:10944                     // 000000009344: DBFE2AC0 34000002
	v_mfma_f32_16x16x32_fp8_fp8 v[164:167], a[126:127], a[6:7], v[164:167]// 00000000934C: D3F300A4 1E920D7E
	v_mfma_f32_16x16x32_fp8_fp8 v[184:187], a[128:129], a[0:1], v[184:187]// 000000009354: D3F300B8 1EE20180
	buffer_load_dwordx4 a[88:91], v59, s[24:27], 0 offen       // 00000000935C: E05C1000 8086583B
	v_mfma_f32_16x16x32_fp8_fp8 v[184:187], a[130:131], a[2:3], v[184:187]// 000000009364: D3F300B8 1EE20582
	v_mfma_f32_16x16x32_fp8_fp8 v[184:187], a[132:133], a[4:5], v[184:187]// 00000000936C: D3F300B8 1EE20984
	ds_read_b128 a[56:59], v2 offset:11392                     // 000000009374: DBFE2C80 38000002
	ds_read_b128 a[60:63], v2 offset:11456                     // 00000000937C: DBFE2CC0 3C000002
	v_mfma_f32_16x16x32_fp8_fp8 v[184:187], a[134:135], a[6:7], v[184:187]// 000000009384: D3F300B8 1EE20D86
	v_mfma_f32_16x16x32_fp8_fp8 v[204:207], a[136:137], a[0:1], v[204:207]// 00000000938C: D3F300CC 1F320188
	buffer_load_dwordx4 a[92:95], v59, s[24:27], 0 offen offset:1024// 000000009394: E05C1400 80865C3B
	v_mfma_f32_16x16x32_fp8_fp8 v[204:207], a[138:139], a[2:3], v[204:207]// 00000000939C: D3F300CC 1F32058A
	v_mfma_f32_16x16x32_fp8_fp8 v[204:207], a[140:141], a[4:5], v[204:207]// 0000000093A4: D3F300CC 1F32098C
	ds_read_b128 a[64:67], v2 offset:11904                     // 0000000093AC: DBFE2E80 40000002
	ds_read_b128 a[68:71], v2 offset:11968                     // 0000000093B4: DBFE2EC0 44000002
	v_mfma_f32_16x16x32_fp8_fp8 v[204:207], a[142:143], a[6:7], v[204:207]// 0000000093BC: D3F300CC 1F320D8E
	v_mfma_f32_16x16x32_fp8_fp8 v[148:151], a[112:113], a[8:9], v[148:151]// 0000000093C4: D3F30094 1E521170
	buffer_load_dwordx4 a[96:99], v60, s[24:27], 0 offen       // 0000000093CC: E05C1000 8086603C
	v_mfma_f32_16x16x32_fp8_fp8 v[148:151], a[114:115], a[10:11], v[148:151]// 0000000093D4: D3F30094 1E521572
	v_mfma_f32_16x16x32_fp8_fp8 v[148:151], a[116:117], a[12:13], v[148:151]// 0000000093DC: D3F30094 1E521974
	ds_read_b128 a[72:75], v2 offset:12416                     // 0000000093E4: DBFE3080 48000002
	ds_read_b128 a[76:79], v2 offset:12480                     // 0000000093EC: DBFE30C0 4C000002
	v_mfma_f32_16x16x32_fp8_fp8 v[148:151], a[118:119], a[14:15], v[148:151]// 0000000093F4: D3F30094 1E521D76
	v_mfma_f32_16x16x32_fp8_fp8 v[168:171], a[120:121], a[8:9], v[168:171]// 0000000093FC: D3F300A8 1EA21178
	buffer_load_dwordx4 a[100:103], v60, s[24:27], 0 offen offset:1024// 000000009404: E05C1400 8086643C
	v_mfma_f32_16x16x32_fp8_fp8 v[168:171], a[122:123], a[10:11], v[168:171]// 00000000940C: D3F300A8 1EA2157A
	v_mfma_f32_16x16x32_fp8_fp8 v[168:171], a[124:125], a[12:13], v[168:171]// 000000009414: D3F300A8 1EA2197C
	v_mfma_f32_16x16x32_fp8_fp8 v[168:171], a[126:127], a[14:15], v[168:171]// 00000000941C: D3F300A8 1EA21D7E
	v_mfma_f32_16x16x32_fp8_fp8 v[188:191], a[128:129], a[8:9], v[188:191]// 000000009424: D3F300BC 1EF21180
	buffer_load_dwordx4 a[104:107], v61, s[24:27], 0 offen     // 00000000942C: E05C1000 8086683D
	v_mfma_f32_16x16x32_fp8_fp8 v[188:191], a[130:131], a[10:11], v[188:191]// 000000009434: D3F300BC 1EF21582
	v_mfma_f32_16x16x32_fp8_fp8 v[188:191], a[132:133], a[12:13], v[188:191]// 00000000943C: D3F300BC 1EF21984
	v_mfma_f32_16x16x32_fp8_fp8 v[188:191], a[134:135], a[14:15], v[188:191]// 000000009444: D3F300BC 1EF21D86
	v_mfma_f32_16x16x32_fp8_fp8 v[208:211], a[136:137], a[8:9], v[208:211]// 00000000944C: D3F300D0 1F421188
	buffer_load_dwordx4 a[108:111], v61, s[24:27], 0 offen offset:1024// 000000009454: E05C1400 80866C3D
	v_mfma_f32_16x16x32_fp8_fp8 v[208:211], a[138:139], a[10:11], v[208:211]// 00000000945C: D3F300D0 1F42158A
	v_mfma_f32_16x16x32_fp8_fp8 v[208:211], a[140:141], a[12:13], v[208:211]// 000000009464: D3F300D0 1F42198C
	v_mfma_f32_16x16x32_fp8_fp8 v[208:211], a[142:143], a[14:15], v[208:211]// 00000000946C: D3F300D0 1F421D8E
	v_mfma_f32_16x16x32_fp8_fp8 v[152:155], a[112:113], a[16:17], v[152:155]// 000000009474: D3F30098 1E622170
	v_mfma_f32_16x16x32_fp8_fp8 v[152:155], a[114:115], a[18:19], v[152:155]// 00000000947C: D3F30098 1E622572
	v_mfma_f32_16x16x32_fp8_fp8 v[152:155], a[116:117], a[20:21], v[152:155]// 000000009484: D3F30098 1E622974
	v_mfma_f32_16x16x32_fp8_fp8 v[152:155], a[118:119], a[22:23], v[152:155]// 00000000948C: D3F30098 1E622D76
	v_mfma_f32_16x16x32_fp8_fp8 v[172:175], a[120:121], a[16:17], v[172:175]// 000000009494: D3F300AC 1EB22178
	v_mfma_f32_16x16x32_fp8_fp8 v[172:175], a[122:123], a[18:19], v[172:175]// 00000000949C: D3F300AC 1EB2257A
	v_mfma_f32_16x16x32_fp8_fp8 v[172:175], a[124:125], a[20:21], v[172:175]// 0000000094A4: D3F300AC 1EB2297C
	v_mfma_f32_16x16x32_fp8_fp8 v[172:175], a[126:127], a[22:23], v[172:175]// 0000000094AC: D3F300AC 1EB22D7E
	v_mfma_f32_16x16x32_fp8_fp8 v[192:195], a[128:129], a[16:17], v[192:195]// 0000000094B4: D3F300C0 1F022180
	v_mfma_f32_16x16x32_fp8_fp8 v[192:195], a[130:131], a[18:19], v[192:195]// 0000000094BC: D3F300C0 1F022582
	v_mfma_f32_16x16x32_fp8_fp8 v[192:195], a[132:133], a[20:21], v[192:195]// 0000000094C4: D3F300C0 1F022984
	v_mfma_f32_16x16x32_fp8_fp8 v[192:195], a[134:135], a[22:23], v[192:195]// 0000000094CC: D3F300C0 1F022D86
	v_mfma_f32_16x16x32_fp8_fp8 v[212:215], a[136:137], a[16:17], v[212:215]// 0000000094D4: D3F300D4 1F522188
	v_mfma_f32_16x16x32_fp8_fp8 v[212:215], a[138:139], a[18:19], v[212:215]// 0000000094DC: D3F300D4 1F52258A
	v_mfma_f32_16x16x32_fp8_fp8 v[212:215], a[140:141], a[20:21], v[212:215]// 0000000094E4: D3F300D4 1F52298C
	v_mfma_f32_16x16x32_fp8_fp8 v[212:215], a[142:143], a[22:23], v[212:215]// 0000000094EC: D3F300D4 1F522D8E
	v_mfma_f32_16x16x32_fp8_fp8 v[156:159], a[112:113], a[24:25], v[156:159]// 0000000094F4: D3F3009C 1E723170
	v_mfma_f32_16x16x32_fp8_fp8 v[156:159], a[114:115], a[26:27], v[156:159]// 0000000094FC: D3F3009C 1E723572
	v_mfma_f32_16x16x32_fp8_fp8 v[156:159], a[116:117], a[28:29], v[156:159]// 000000009504: D3F3009C 1E723974
	v_mfma_f32_16x16x32_fp8_fp8 v[156:159], a[118:119], a[30:31], v[156:159]// 00000000950C: D3F3009C 1E723D76
	v_mfma_f32_16x16x32_fp8_fp8 v[176:179], a[120:121], a[24:25], v[176:179]// 000000009514: D3F300B0 1EC23178
	v_mfma_f32_16x16x32_fp8_fp8 v[176:179], a[122:123], a[26:27], v[176:179]// 00000000951C: D3F300B0 1EC2357A
	v_mfma_f32_16x16x32_fp8_fp8 v[176:179], a[124:125], a[28:29], v[176:179]// 000000009524: D3F300B0 1EC2397C
	v_mfma_f32_16x16x32_fp8_fp8 v[176:179], a[126:127], a[30:31], v[176:179]// 00000000952C: D3F300B0 1EC23D7E
	v_mfma_f32_16x16x32_fp8_fp8 v[196:199], a[128:129], a[24:25], v[196:199]// 000000009534: D3F300C4 1F123180
	v_mfma_f32_16x16x32_fp8_fp8 v[196:199], a[130:131], a[26:27], v[196:199]// 00000000953C: D3F300C4 1F123582
	v_mfma_f32_16x16x32_fp8_fp8 v[196:199], a[132:133], a[28:29], v[196:199]// 000000009544: D3F300C4 1F123984
	v_mfma_f32_16x16x32_fp8_fp8 v[196:199], a[134:135], a[30:31], v[196:199]// 00000000954C: D3F300C4 1F123D86
	v_mfma_f32_16x16x32_fp8_fp8 v[216:219], a[136:137], a[24:25], v[216:219]// 000000009554: D3F300D8 1F623188
	v_mfma_f32_16x16x32_fp8_fp8 v[216:219], a[138:139], a[26:27], v[216:219]// 00000000955C: D3F300D8 1F62358A
	v_mfma_f32_16x16x32_fp8_fp8 v[216:219], a[140:141], a[28:29], v[216:219]// 000000009564: D3F300D8 1F62398C
	v_mfma_f32_16x16x32_fp8_fp8 v[216:219], a[142:143], a[30:31], v[216:219]// 00000000956C: D3F300D8 1F623D8E
	v_mfma_f32_16x16x32_fp8_fp8 v[160:163], a[112:113], a[32:33], v[160:163]// 000000009574: D3F300A0 1E824170
	v_mfma_f32_16x16x32_fp8_fp8 v[160:163], a[114:115], a[34:35], v[160:163]// 00000000957C: D3F300A0 1E824572
	v_mfma_f32_16x16x32_fp8_fp8 v[160:163], a[116:117], a[36:37], v[160:163]// 000000009584: D3F300A0 1E824974
	v_mfma_f32_16x16x32_fp8_fp8 v[160:163], a[118:119], a[38:39], v[160:163]// 00000000958C: D3F300A0 1E824D76
	v_mfma_f32_16x16x32_fp8_fp8 v[180:183], a[120:121], a[32:33], v[180:183]// 000000009594: D3F300B4 1ED24178
	v_mfma_f32_16x16x32_fp8_fp8 v[180:183], a[122:123], a[34:35], v[180:183]// 00000000959C: D3F300B4 1ED2457A
	v_mfma_f32_16x16x32_fp8_fp8 v[180:183], a[124:125], a[36:37], v[180:183]// 0000000095A4: D3F300B4 1ED2497C
	v_mfma_f32_16x16x32_fp8_fp8 v[180:183], a[126:127], a[38:39], v[180:183]// 0000000095AC: D3F300B4 1ED24D7E
	v_mfma_f32_16x16x32_fp8_fp8 v[200:203], a[128:129], a[32:33], v[200:203]// 0000000095B4: D3F300C8 1F224180
	v_mfma_f32_16x16x32_fp8_fp8 v[200:203], a[130:131], a[34:35], v[200:203]// 0000000095BC: D3F300C8 1F224582
	v_mfma_f32_16x16x32_fp8_fp8 v[200:203], a[132:133], a[36:37], v[200:203]// 0000000095C4: D3F300C8 1F224984
	s_add_u32 s60, 0x180, s80                                  // 0000000095CC: 803C50FF 00000180
	s_cmp_lt_u32 s60, s81                                      // 0000000095D4: BF0A513C
	s_cselect_b32 s57, s57, 0                                  // 0000000095D8: 85398039
	v_mfma_f32_16x16x32_fp8_fp8 v[200:203], a[134:135], a[38:39], v[200:203]// 0000000095DC: D3F300C8 1F224D86
	s_add_u32 s60, 0x100, s80                                  // 0000000095E4: 803C50FF 00000100
	s_cmp_lt_u32 s60, s81                                      // 0000000095EC: BF0A513C
	s_cselect_b32 s58, s58, 0                                  // 0000000095F0: 853A803A
	v_mfma_f32_16x16x32_fp8_fp8 v[220:223], a[136:137], a[32:33], v[220:223]// 0000000095F4: D3F300DC 1F724188
	s_add_u32 s24, s58, s24                                    // 0000000095FC: 8018183A
	s_addc_u32 s25, 0, s25                                     // 000000009600: 82191980
	v_mfma_f32_16x16x32_fp8_fp8 v[220:223], a[138:139], a[34:35], v[220:223]// 000000009604: D3F300DC 1F72458A
	s_add_u32 s20, s57, s20                                    // 00000000960C: 80141439
	s_addc_u32 s21, 0, s21                                     // 000000009610: 82151580
	v_mfma_f32_16x16x32_fp8_fp8 v[220:223], a[140:141], a[36:37], v[220:223]// 000000009614: D3F300DC 1F72498C
	s_add_u32 s84, s83, s84                                    // 00000000961C: 80545453
	s_addc_u32 s85, 0, s85                                     // 000000009620: 82555580
	v_mfma_f32_16x16x32_fp8_fp8 v[220:223], a[142:143], a[38:39], v[220:223]// 000000009624: D3F300DC 1F724D8E
	s_addk_i32 s80, 0x80                                       // 00000000962C: B7500080
	s_cmp_lt_i32 s80, s81                                      // 000000009630: BF045150
	s_cbranch_scc0 label_1CC8                                  // 000000009634: BF8401B7
	s_waitcnt vmcnt(6) lgkmcnt(0)                              // 000000009638: BF8C0076
	s_barrier                                                  // 00000000963C: BF8A0000
	v_mfma_f32_16x16x32_fp8_fp8 v[64:67], a[80:81], a[40:41], v[64:67]// 000000009640: D3F30040 1D025150
	buffer_load_dwordx4 a[112:115], v58, s[84:87], 0 offen     // 000000009648: E05C1000 8095703A
	v_mfma_f32_16x16x32_fp8_fp8 v[64:67], a[82:83], a[42:43], v[64:67]// 000000009650: D3F30040 1D025552
	v_mfma_f32_16x16x32_fp8_fp8 v[64:67], a[84:85], a[44:45], v[64:67]// 000000009658: D3F30040 1D025954
	v_mfma_f32_16x16x32_fp8_fp8 v[64:67], a[86:87], a[46:47], v[64:67]// 000000009660: D3F30040 1D025D56
	v_mfma_f32_16x16x32_fp8_fp8 v[68:71], a[80:81], a[48:49], v[68:71]// 000000009668: D3F30044 1D126150
	buffer_load_dwordx4 a[116:119], v58, s[84:87], 0 offen offset:1024// 000000009670: E05C1400 8095743A
	v_mfma_f32_16x16x32_fp8_fp8 v[68:71], a[82:83], a[50:51], v[68:71]// 000000009678: D3F30044 1D126552
	v_mfma_f32_16x16x32_fp8_fp8 v[68:71], a[84:85], a[52:53], v[68:71]// 000000009680: D3F30044 1D126954
	v_mfma_f32_16x16x32_fp8_fp8 v[68:71], a[86:87], a[54:55], v[68:71]// 000000009688: D3F30044 1D126D56
	v_mfma_f32_16x16x32_fp8_fp8 v[72:75], a[80:81], a[56:57], v[72:75]// 000000009690: D3F30048 1D227150
	buffer_load_dwordx4 a[120:123], v59, s[84:87], 0 offen     // 000000009698: E05C1000 8095783B
	v_mfma_f32_16x16x32_fp8_fp8 v[72:75], a[82:83], a[58:59], v[72:75]// 0000000096A0: D3F30048 1D227552
	v_mfma_f32_16x16x32_fp8_fp8 v[72:75], a[84:85], a[60:61], v[72:75]// 0000000096A8: D3F30048 1D227954
	v_mfma_f32_16x16x32_fp8_fp8 v[72:75], a[86:87], a[62:63], v[72:75]// 0000000096B0: D3F30048 1D227D56
	v_mfma_f32_16x16x32_fp8_fp8 v[76:79], a[80:81], a[64:65], v[76:79]// 0000000096B8: D3F3004C 1D328150
	buffer_load_dwordx4 a[124:127], v59, s[84:87], 0 offen offset:1024// 0000000096C0: E05C1400 80957C3B
	v_mfma_f32_16x16x32_fp8_fp8 v[76:79], a[82:83], a[66:67], v[76:79]// 0000000096C8: D3F3004C 1D328552
	v_mfma_f32_16x16x32_fp8_fp8 v[76:79], a[84:85], a[68:69], v[76:79]// 0000000096D0: D3F3004C 1D328954
	v_mfma_f32_16x16x32_fp8_fp8 v[76:79], a[86:87], a[70:71], v[76:79]// 0000000096D8: D3F3004C 1D328D56
	v_mfma_f32_16x16x32_fp8_fp8 v[80:83], a[80:81], a[72:73], v[80:83]// 0000000096E0: D3F30050 1D429150
	buffer_load_dwordx4 a[128:131], v60, s[84:87], 0 offen     // 0000000096E8: E05C1000 8095803C
	v_mfma_f32_16x16x32_fp8_fp8 v[80:83], a[82:83], a[74:75], v[80:83]// 0000000096F0: D3F30050 1D429552
	v_mfma_f32_16x16x32_fp8_fp8 v[80:83], a[84:85], a[76:77], v[80:83]// 0000000096F8: D3F30050 1D429954
	v_mfma_f32_16x16x32_fp8_fp8 v[80:83], a[86:87], a[78:79], v[80:83]// 000000009700: D3F30050 1D429D56
	s_waitcnt vmcnt(9)                                         // 000000009708: BF8C0F79
	v_mfma_f32_16x16x32_fp8_fp8 v[84:87], a[88:89], a[40:41], v[84:87]// 00000000970C: D3F30054 1D525158
	buffer_load_dwordx4 a[132:135], v60, s[84:87], 0 offen offset:1024// 000000009714: E05C1400 8095843C
	v_mfma_f32_16x16x32_fp8_fp8 v[84:87], a[90:91], a[42:43], v[84:87]// 00000000971C: D3F30054 1D52555A
	v_mfma_f32_16x16x32_fp8_fp8 v[84:87], a[92:93], a[44:45], v[84:87]// 000000009724: D3F30054 1D52595C
	v_mfma_f32_16x16x32_fp8_fp8 v[84:87], a[94:95], a[46:47], v[84:87]// 00000000972C: D3F30054 1D525D5E
	v_mfma_f32_16x16x32_fp8_fp8 v[88:91], a[88:89], a[48:49], v[88:91]// 000000009734: D3F30058 1D626158
	buffer_load_dwordx4 a[136:139], v61, s[84:87], 0 offen     // 00000000973C: E05C1000 8095883D
	v_mfma_f32_16x16x32_fp8_fp8 v[88:91], a[90:91], a[50:51], v[88:91]// 000000009744: D3F30058 1D62655A
	v_mfma_f32_16x16x32_fp8_fp8 v[88:91], a[92:93], a[52:53], v[88:91]// 00000000974C: D3F30058 1D62695C
	v_mfma_f32_16x16x32_fp8_fp8 v[88:91], a[94:95], a[54:55], v[88:91]// 000000009754: D3F30058 1D626D5E
	v_mfma_f32_16x16x32_fp8_fp8 v[92:95], a[88:89], a[56:57], v[92:95]// 00000000975C: D3F3005C 1D727158
	buffer_load_dwordx4 a[140:143], v61, s[84:87], 0 offen offset:1024// 000000009764: E05C1400 80958C3D
	buffer_load_dword v48, s[20:23], 0 offen lds               // 00000000976C: E0511000 80050030
	s_add_u32 m0, 0x100, s49                                   // 000000009774: 807C31FF 00000100
	v_mfma_f32_16x16x32_fp8_fp8 v[92:95], a[90:91], a[58:59], v[92:95]// 00000000977C: D3F3005C 1D72755A
	v_mfma_f32_16x16x32_fp8_fp8 v[92:95], a[92:93], a[60:61], v[92:95]// 000000009784: D3F3005C 1D72795C
	buffer_load_dword v49, s[20:23], 0 offen lds               // 00000000978C: E0511000 80050031
	s_add_u32 m0, 0x200, s49                                   // 000000009794: 807C31FF 00000200
	v_mfma_f32_16x16x32_fp8_fp8 v[92:95], a[94:95], a[62:63], v[92:95]// 00000000979C: D3F3005C 1D727D5E
	v_mfma_f32_16x16x32_fp8_fp8 v[96:99], a[88:89], a[64:65], v[96:99]// 0000000097A4: D3F30060 1D828158
	buffer_load_dword v50, s[20:23], 0 offen lds               // 0000000097AC: E0511000 80050032
	s_add_u32 m0, 0x300, s49                                   // 0000000097B4: 807C31FF 00000300
	v_mfma_f32_16x16x32_fp8_fp8 v[96:99], a[90:91], a[66:67], v[96:99]// 0000000097BC: D3F30060 1D82855A
	v_mfma_f32_16x16x32_fp8_fp8 v[96:99], a[92:93], a[68:69], v[96:99]// 0000000097C4: D3F30060 1D82895C
	buffer_load_dword v51, s[20:23], 0 offen lds               // 0000000097CC: E0511000 80050033
	s_add_u32 m0, 0x400, s49                                   // 0000000097D4: 807C31FF 00000400
	v_mfma_f32_16x16x32_fp8_fp8 v[96:99], a[94:95], a[70:71], v[96:99]// 0000000097DC: D3F30060 1D828D5E
	v_mfma_f32_16x16x32_fp8_fp8 v[100:103], a[88:89], a[72:73], v[100:103]// 0000000097E4: D3F30064 1D929158
	buffer_load_dword v52, s[20:23], 0 offen lds               // 0000000097EC: E0511000 80050034
	s_add_u32 m0, 0x500, s49                                   // 0000000097F4: 807C31FF 00000500
	v_mfma_f32_16x16x32_fp8_fp8 v[100:103], a[90:91], a[74:75], v[100:103]// 0000000097FC: D3F30064 1D92955A
	v_mfma_f32_16x16x32_fp8_fp8 v[100:103], a[92:93], a[76:77], v[100:103]// 000000009804: D3F30064 1D92995C
	buffer_load_dword v53, s[20:23], 0 offen lds               // 00000000980C: E0511000 80050035
	s_add_u32 m0, 0x600, s49                                   // 000000009814: 807C31FF 00000600
	v_mfma_f32_16x16x32_fp8_fp8 v[100:103], a[94:95], a[78:79], v[100:103]// 00000000981C: D3F30064 1D929D5E
	s_waitcnt vmcnt(16)                                        // 000000009824: BF8C4F70
	v_mfma_f32_16x16x32_fp8_fp8 v[104:107], a[96:97], a[40:41], v[104:107]// 000000009828: D3F30068 1DA25160
	buffer_load_dword v54, s[20:23], 0 offen lds               // 000000009830: E0511000 80050036
	s_add_u32 m0, 0x700, s49                                   // 000000009838: 807C31FF 00000700
	v_mfma_f32_16x16x32_fp8_fp8 v[104:107], a[98:99], a[42:43], v[104:107]// 000000009840: D3F30068 1DA25562
	v_mfma_f32_16x16x32_fp8_fp8 v[104:107], a[100:101], a[44:45], v[104:107]// 000000009848: D3F30068 1DA25964
	buffer_load_dword v55, s[20:23], 0 offen lds               // 000000009850: E0511000 80050037
	s_add_u32 m0, 0x800, s49                                   // 000000009858: 807C31FF 00000800
	v_mfma_f32_16x16x32_fp8_fp8 v[104:107], a[102:103], a[46:47], v[104:107]// 000000009860: D3F30068 1DA25D66
	v_mfma_f32_16x16x32_fp8_fp8 v[108:111], a[96:97], a[48:49], v[108:111]// 000000009868: D3F3006C 1DB26160
	buffer_load_dword v56, s[20:23], 0 offen lds               // 000000009870: E0511000 80050038
	s_add_u32 m0, 0x900, s49                                   // 000000009878: 807C31FF 00000900
	v_mfma_f32_16x16x32_fp8_fp8 v[108:111], a[98:99], a[50:51], v[108:111]// 000000009880: D3F3006C 1DB26562
	v_mfma_f32_16x16x32_fp8_fp8 v[108:111], a[100:101], a[52:53], v[108:111]// 000000009888: D3F3006C 1DB26964
	buffer_load_dword v57, s[20:23], 0 offen lds               // 000000009890: E0511000 80050039
	s_add_u32 m0, 0, s48                                       // 000000009898: 807C3080
	v_mfma_f32_16x16x32_fp8_fp8 v[108:111], a[102:103], a[54:55], v[108:111]// 00000000989C: D3F3006C 1DB26D66
	v_mfma_f32_16x16x32_fp8_fp8 v[112:115], a[96:97], a[56:57], v[112:115]// 0000000098A4: D3F30070 1DC27160
	v_mfma_f32_16x16x32_fp8_fp8 v[112:115], a[98:99], a[58:59], v[112:115]// 0000000098AC: D3F30070 1DC27562
	v_mfma_f32_16x16x32_fp8_fp8 v[112:115], a[100:101], a[60:61], v[112:115]// 0000000098B4: D3F30070 1DC27964
	v_mfma_f32_16x16x32_fp8_fp8 v[112:115], a[102:103], a[62:63], v[112:115]// 0000000098BC: D3F30070 1DC27D66
	v_mfma_f32_16x16x32_fp8_fp8 v[116:119], a[96:97], a[64:65], v[116:119]// 0000000098C4: D3F30074 1DD28160
	v_mfma_f32_16x16x32_fp8_fp8 v[116:119], a[98:99], a[66:67], v[116:119]// 0000000098CC: D3F30074 1DD28562
	v_mfma_f32_16x16x32_fp8_fp8 v[116:119], a[100:101], a[68:69], v[116:119]// 0000000098D4: D3F30074 1DD28964
	v_mfma_f32_16x16x32_fp8_fp8 v[116:119], a[102:103], a[70:71], v[116:119]// 0000000098DC: D3F30074 1DD28D66
	v_mfma_f32_16x16x32_fp8_fp8 v[120:123], a[96:97], a[72:73], v[120:123]// 0000000098E4: D3F30078 1DE29160
	v_mfma_f32_16x16x32_fp8_fp8 v[120:123], a[98:99], a[74:75], v[120:123]// 0000000098EC: D3F30078 1DE29562
	v_mfma_f32_16x16x32_fp8_fp8 v[120:123], a[100:101], a[76:77], v[120:123]// 0000000098F4: D3F30078 1DE29964
	v_mfma_f32_16x16x32_fp8_fp8 v[120:123], a[102:103], a[78:79], v[120:123]// 0000000098FC: D3F30078 1DE29D66
	s_waitcnt vmcnt(18)                                        // 000000009904: BF8C4F72
	v_mfma_f32_16x16x32_fp8_fp8 v[124:127], a[104:105], a[40:41], v[124:127]// 000000009908: D3F3007C 1DF25168
	v_mfma_f32_16x16x32_fp8_fp8 v[124:127], a[106:107], a[42:43], v[124:127]// 000000009910: D3F3007C 1DF2556A
	v_mfma_f32_16x16x32_fp8_fp8 v[124:127], a[108:109], a[44:45], v[124:127]// 000000009918: D3F3007C 1DF2596C
	v_mfma_f32_16x16x32_fp8_fp8 v[124:127], a[110:111], a[46:47], v[124:127]// 000000009920: D3F3007C 1DF25D6E
	v_mfma_f32_16x16x32_fp8_fp8 v[128:131], a[104:105], a[48:49], v[128:131]// 000000009928: D3F30080 1E026168
	v_mfma_f32_16x16x32_fp8_fp8 v[128:131], a[106:107], a[50:51], v[128:131]// 000000009930: D3F30080 1E02656A
	v_mfma_f32_16x16x32_fp8_fp8 v[128:131], a[108:109], a[52:53], v[128:131]// 000000009938: D3F30080 1E02696C
	v_mfma_f32_16x16x32_fp8_fp8 v[128:131], a[110:111], a[54:55], v[128:131]// 000000009940: D3F30080 1E026D6E
	v_mfma_f32_16x16x32_fp8_fp8 v[132:135], a[104:105], a[56:57], v[132:135]// 000000009948: D3F30084 1E127168
	v_mfma_f32_16x16x32_fp8_fp8 v[132:135], a[106:107], a[58:59], v[132:135]// 000000009950: D3F30084 1E12756A
	v_mfma_f32_16x16x32_fp8_fp8 v[132:135], a[108:109], a[60:61], v[132:135]// 000000009958: D3F30084 1E12796C
	v_mfma_f32_16x16x32_fp8_fp8 v[132:135], a[110:111], a[62:63], v[132:135]// 000000009960: D3F30084 1E127D6E
	v_mfma_f32_16x16x32_fp8_fp8 v[136:139], a[104:105], a[64:65], v[136:139]// 000000009968: D3F30088 1E228168
	v_mfma_f32_16x16x32_fp8_fp8 v[136:139], a[106:107], a[66:67], v[136:139]// 000000009970: D3F30088 1E22856A
	v_mfma_f32_16x16x32_fp8_fp8 v[136:139], a[108:109], a[68:69], v[136:139]// 000000009978: D3F30088 1E22896C
	v_mfma_f32_16x16x32_fp8_fp8 v[136:139], a[110:111], a[70:71], v[136:139]// 000000009980: D3F30088 1E228D6E
	v_mfma_f32_16x16x32_fp8_fp8 v[140:143], a[104:105], a[72:73], v[140:143]// 000000009988: D3F3008C 1E329168
	v_mfma_f32_16x16x32_fp8_fp8 v[140:143], a[106:107], a[74:75], v[140:143]// 000000009990: D3F3008C 1E32956A
	s_add_u32 s60, 0x80, s80                                   // 000000009998: 803C50FF 00000080
	s_cmp_lt_u32 s60, s81                                      // 0000000099A0: BF0A513C
	s_cselect_b32 s83, s83, 0                                  // 0000000099A4: 85538053
	v_mfma_f32_16x16x32_fp8_fp8 v[140:143], a[108:109], a[76:77], v[140:143]// 0000000099A8: D3F3008C 1E32996C
	v_mfma_f32_16x16x32_fp8_fp8 v[140:143], a[110:111], a[78:79], v[140:143]// 0000000099B0: D3F3008C 1E329D6E
	s_waitcnt vmcnt(10)                                        // 0000000099B8: BF8C0F7A
	v_mfma_f32_16x16x32_fp8_fp8 v[144:147], a[112:113], a[40:41], v[144:147]// 0000000099BC: D3F30090 1E425170
	buffer_load_dwordx4 a[80:83], v58, s[24:27], 0 offen       // 0000000099C4: E05C1000 8086503A
	v_mfma_f32_16x16x32_fp8_fp8 v[144:147], a[114:115], a[42:43], v[144:147]// 0000000099CC: D3F30090 1E425572
	v_mfma_f32_16x16x32_fp8_fp8 v[144:147], a[116:117], a[44:45], v[144:147]// 0000000099D4: D3F30090 1E425974
	ds_read_b128 a[0:3], v2                                    // 0000000099DC: DBFE0000 00000002
	ds_read_b128 a[4:7], v2 offset:64                          // 0000000099E4: DBFE0040 04000002
	v_mfma_f32_16x16x32_fp8_fp8 v[144:147], a[118:119], a[46:47], v[144:147]// 0000000099EC: D3F30090 1E425D76
	v_mfma_f32_16x16x32_fp8_fp8 v[164:167], a[120:121], a[40:41], v[164:167]// 0000000099F4: D3F300A4 1E925178
	buffer_load_dwordx4 a[84:87], v58, s[24:27], 0 offen offset:1024// 0000000099FC: E05C1400 8086543A
	v_mfma_f32_16x16x32_fp8_fp8 v[164:167], a[122:123], a[42:43], v[164:167]// 000000009A04: D3F300A4 1E92557A
	v_mfma_f32_16x16x32_fp8_fp8 v[164:167], a[124:125], a[44:45], v[164:167]// 000000009A0C: D3F300A4 1E92597C
	ds_read_b128 a[8:11], v2 offset:512                        // 000000009A14: DBFE0200 08000002
	ds_read_b128 a[12:15], v2 offset:576                       // 000000009A1C: DBFE0240 0C000002
	v_mfma_f32_16x16x32_fp8_fp8 v[164:167], a[126:127], a[46:47], v[164:167]// 000000009A24: D3F300A4 1E925D7E
	v_mfma_f32_16x16x32_fp8_fp8 v[184:187], a[128:129], a[40:41], v[184:187]// 000000009A2C: D3F300B8 1EE25180
	buffer_load_dwordx4 a[88:91], v59, s[24:27], 0 offen       // 000000009A34: E05C1000 8086583B
	v_mfma_f32_16x16x32_fp8_fp8 v[184:187], a[130:131], a[42:43], v[184:187]// 000000009A3C: D3F300B8 1EE25582
	v_mfma_f32_16x16x32_fp8_fp8 v[184:187], a[132:133], a[44:45], v[184:187]// 000000009A44: D3F300B8 1EE25984
	ds_read_b128 a[16:19], v2 offset:1024                      // 000000009A4C: DBFE0400 10000002
	ds_read_b128 a[20:23], v2 offset:1088                      // 000000009A54: DBFE0440 14000002
	v_mfma_f32_16x16x32_fp8_fp8 v[184:187], a[134:135], a[46:47], v[184:187]// 000000009A5C: D3F300B8 1EE25D86
	v_mfma_f32_16x16x32_fp8_fp8 v[204:207], a[136:137], a[40:41], v[204:207]// 000000009A64: D3F300CC 1F325188
	buffer_load_dwordx4 a[92:95], v59, s[24:27], 0 offen offset:1024// 000000009A6C: E05C1400 80865C3B
	v_mfma_f32_16x16x32_fp8_fp8 v[204:207], a[138:139], a[42:43], v[204:207]// 000000009A74: D3F300CC 1F32558A
	v_mfma_f32_16x16x32_fp8_fp8 v[204:207], a[140:141], a[44:45], v[204:207]// 000000009A7C: D3F300CC 1F32598C
	ds_read_b128 a[24:27], v2 offset:1536                      // 000000009A84: DBFE0600 18000002
	ds_read_b128 a[28:31], v2 offset:1600                      // 000000009A8C: DBFE0640 1C000002
	v_mfma_f32_16x16x32_fp8_fp8 v[204:207], a[142:143], a[46:47], v[204:207]// 000000009A94: D3F300CC 1F325D8E
	v_mfma_f32_16x16x32_fp8_fp8 v[148:151], a[112:113], a[48:49], v[148:151]// 000000009A9C: D3F30094 1E526170
	buffer_load_dwordx4 a[96:99], v60, s[24:27], 0 offen       // 000000009AA4: E05C1000 8086603C
	v_mfma_f32_16x16x32_fp8_fp8 v[148:151], a[114:115], a[50:51], v[148:151]// 000000009AAC: D3F30094 1E526572
	v_mfma_f32_16x16x32_fp8_fp8 v[148:151], a[116:117], a[52:53], v[148:151]// 000000009AB4: D3F30094 1E526974
	ds_read_b128 a[32:35], v2 offset:2048                      // 000000009ABC: DBFE0800 20000002
	ds_read_b128 a[36:39], v2 offset:2112                      // 000000009AC4: DBFE0840 24000002
	v_mfma_f32_16x16x32_fp8_fp8 v[148:151], a[118:119], a[54:55], v[148:151]// 000000009ACC: D3F30094 1E526D76
	v_mfma_f32_16x16x32_fp8_fp8 v[168:171], a[120:121], a[48:49], v[168:171]// 000000009AD4: D3F300A8 1EA26178
	buffer_load_dwordx4 a[100:103], v60, s[24:27], 0 offen offset:1024// 000000009ADC: E05C1400 8086643C
	v_mfma_f32_16x16x32_fp8_fp8 v[168:171], a[122:123], a[50:51], v[168:171]// 000000009AE4: D3F300A8 1EA2657A
	v_mfma_f32_16x16x32_fp8_fp8 v[168:171], a[124:125], a[52:53], v[168:171]// 000000009AEC: D3F300A8 1EA2697C
	v_mfma_f32_16x16x32_fp8_fp8 v[168:171], a[126:127], a[54:55], v[168:171]// 000000009AF4: D3F300A8 1EA26D7E
	v_mfma_f32_16x16x32_fp8_fp8 v[188:191], a[128:129], a[48:49], v[188:191]// 000000009AFC: D3F300BC 1EF26180
	buffer_load_dwordx4 a[104:107], v61, s[24:27], 0 offen     // 000000009B04: E05C1000 8086683D
	v_mfma_f32_16x16x32_fp8_fp8 v[188:191], a[130:131], a[50:51], v[188:191]// 000000009B0C: D3F300BC 1EF26582
	v_mfma_f32_16x16x32_fp8_fp8 v[188:191], a[132:133], a[52:53], v[188:191]// 000000009B14: D3F300BC 1EF26984
	v_mfma_f32_16x16x32_fp8_fp8 v[188:191], a[134:135], a[54:55], v[188:191]// 000000009B1C: D3F300BC 1EF26D86
	v_mfma_f32_16x16x32_fp8_fp8 v[208:211], a[136:137], a[48:49], v[208:211]// 000000009B24: D3F300D0 1F426188
	buffer_load_dwordx4 a[108:111], v61, s[24:27], 0 offen offset:1024// 000000009B2C: E05C1400 80866C3D
	v_mfma_f32_16x16x32_fp8_fp8 v[208:211], a[138:139], a[50:51], v[208:211]// 000000009B34: D3F300D0 1F42658A
	v_mfma_f32_16x16x32_fp8_fp8 v[208:211], a[140:141], a[52:53], v[208:211]// 000000009B3C: D3F300D0 1F42698C
	v_mfma_f32_16x16x32_fp8_fp8 v[208:211], a[142:143], a[54:55], v[208:211]// 000000009B44: D3F300D0 1F426D8E
	v_mfma_f32_16x16x32_fp8_fp8 v[152:155], a[112:113], a[56:57], v[152:155]// 000000009B4C: D3F30098 1E627170
	v_mfma_f32_16x16x32_fp8_fp8 v[152:155], a[114:115], a[58:59], v[152:155]// 000000009B54: D3F30098 1E627572
	v_mfma_f32_16x16x32_fp8_fp8 v[152:155], a[116:117], a[60:61], v[152:155]// 000000009B5C: D3F30098 1E627974
	v_mfma_f32_16x16x32_fp8_fp8 v[152:155], a[118:119], a[62:63], v[152:155]// 000000009B64: D3F30098 1E627D76
	v_mfma_f32_16x16x32_fp8_fp8 v[172:175], a[120:121], a[56:57], v[172:175]// 000000009B6C: D3F300AC 1EB27178
	v_mfma_f32_16x16x32_fp8_fp8 v[172:175], a[122:123], a[58:59], v[172:175]// 000000009B74: D3F300AC 1EB2757A
	v_mfma_f32_16x16x32_fp8_fp8 v[172:175], a[124:125], a[60:61], v[172:175]// 000000009B7C: D3F300AC 1EB2797C
	v_mfma_f32_16x16x32_fp8_fp8 v[172:175], a[126:127], a[62:63], v[172:175]// 000000009B84: D3F300AC 1EB27D7E
	v_mfma_f32_16x16x32_fp8_fp8 v[192:195], a[128:129], a[56:57], v[192:195]// 000000009B8C: D3F300C0 1F027180
	v_mfma_f32_16x16x32_fp8_fp8 v[192:195], a[130:131], a[58:59], v[192:195]// 000000009B94: D3F300C0 1F027582
	v_mfma_f32_16x16x32_fp8_fp8 v[192:195], a[132:133], a[60:61], v[192:195]// 000000009B9C: D3F300C0 1F027984
	v_mfma_f32_16x16x32_fp8_fp8 v[192:195], a[134:135], a[62:63], v[192:195]// 000000009BA4: D3F300C0 1F027D86
	v_mfma_f32_16x16x32_fp8_fp8 v[212:215], a[136:137], a[56:57], v[212:215]// 000000009BAC: D3F300D4 1F527188
	v_mfma_f32_16x16x32_fp8_fp8 v[212:215], a[138:139], a[58:59], v[212:215]// 000000009BB4: D3F300D4 1F52758A
	v_mfma_f32_16x16x32_fp8_fp8 v[212:215], a[140:141], a[60:61], v[212:215]// 000000009BBC: D3F300D4 1F52798C
	v_mfma_f32_16x16x32_fp8_fp8 v[212:215], a[142:143], a[62:63], v[212:215]// 000000009BC4: D3F300D4 1F527D8E
	v_mfma_f32_16x16x32_fp8_fp8 v[156:159], a[112:113], a[64:65], v[156:159]// 000000009BCC: D3F3009C 1E728170
	v_mfma_f32_16x16x32_fp8_fp8 v[156:159], a[114:115], a[66:67], v[156:159]// 000000009BD4: D3F3009C 1E728572
	v_mfma_f32_16x16x32_fp8_fp8 v[156:159], a[116:117], a[68:69], v[156:159]// 000000009BDC: D3F3009C 1E728974
	v_mfma_f32_16x16x32_fp8_fp8 v[156:159], a[118:119], a[70:71], v[156:159]// 000000009BE4: D3F3009C 1E728D76
	v_mfma_f32_16x16x32_fp8_fp8 v[176:179], a[120:121], a[64:65], v[176:179]// 000000009BEC: D3F300B0 1EC28178
	v_mfma_f32_16x16x32_fp8_fp8 v[176:179], a[122:123], a[66:67], v[176:179]// 000000009BF4: D3F300B0 1EC2857A
	v_mfma_f32_16x16x32_fp8_fp8 v[176:179], a[124:125], a[68:69], v[176:179]// 000000009BFC: D3F300B0 1EC2897C
	v_mfma_f32_16x16x32_fp8_fp8 v[176:179], a[126:127], a[70:71], v[176:179]// 000000009C04: D3F300B0 1EC28D7E
	v_mfma_f32_16x16x32_fp8_fp8 v[196:199], a[128:129], a[64:65], v[196:199]// 000000009C0C: D3F300C4 1F128180
	v_mfma_f32_16x16x32_fp8_fp8 v[196:199], a[130:131], a[66:67], v[196:199]// 000000009C14: D3F300C4 1F128582
	v_mfma_f32_16x16x32_fp8_fp8 v[196:199], a[132:133], a[68:69], v[196:199]// 000000009C1C: D3F300C4 1F128984
	v_mfma_f32_16x16x32_fp8_fp8 v[196:199], a[134:135], a[70:71], v[196:199]// 000000009C24: D3F300C4 1F128D86
	v_mfma_f32_16x16x32_fp8_fp8 v[216:219], a[136:137], a[64:65], v[216:219]// 000000009C2C: D3F300D8 1F628188
	v_mfma_f32_16x16x32_fp8_fp8 v[216:219], a[138:139], a[66:67], v[216:219]// 000000009C34: D3F300D8 1F62858A
	v_mfma_f32_16x16x32_fp8_fp8 v[216:219], a[140:141], a[68:69], v[216:219]// 000000009C3C: D3F300D8 1F62898C
	v_mfma_f32_16x16x32_fp8_fp8 v[216:219], a[142:143], a[70:71], v[216:219]// 000000009C44: D3F300D8 1F628D8E
	v_mfma_f32_16x16x32_fp8_fp8 v[160:163], a[112:113], a[72:73], v[160:163]// 000000009C4C: D3F300A0 1E829170
	v_mfma_f32_16x16x32_fp8_fp8 v[160:163], a[114:115], a[74:75], v[160:163]// 000000009C54: D3F300A0 1E829572
	v_mfma_f32_16x16x32_fp8_fp8 v[160:163], a[116:117], a[76:77], v[160:163]// 000000009C5C: D3F300A0 1E829974
	v_mfma_f32_16x16x32_fp8_fp8 v[160:163], a[118:119], a[78:79], v[160:163]// 000000009C64: D3F300A0 1E829D76
	v_mfma_f32_16x16x32_fp8_fp8 v[180:183], a[120:121], a[72:73], v[180:183]// 000000009C6C: D3F300B4 1ED29178
	v_mfma_f32_16x16x32_fp8_fp8 v[180:183], a[122:123], a[74:75], v[180:183]// 000000009C74: D3F300B4 1ED2957A
	v_mfma_f32_16x16x32_fp8_fp8 v[180:183], a[124:125], a[76:77], v[180:183]// 000000009C7C: D3F300B4 1ED2997C
	v_mfma_f32_16x16x32_fp8_fp8 v[180:183], a[126:127], a[78:79], v[180:183]// 000000009C84: D3F300B4 1ED29D7E
	v_mfma_f32_16x16x32_fp8_fp8 v[200:203], a[128:129], a[72:73], v[200:203]// 000000009C8C: D3F300C8 1F229180
	v_mfma_f32_16x16x32_fp8_fp8 v[200:203], a[130:131], a[74:75], v[200:203]// 000000009C94: D3F300C8 1F229582
	v_mfma_f32_16x16x32_fp8_fp8 v[200:203], a[132:133], a[76:77], v[200:203]// 000000009C9C: D3F300C8 1F229984
	s_add_u32 s60, 0x180, s80                                  // 000000009CA4: 803C50FF 00000180
	s_cmp_lt_u32 s60, s81                                      // 000000009CAC: BF0A513C
	s_cselect_b32 s57, s57, 0                                  // 000000009CB0: 85398039
	v_mfma_f32_16x16x32_fp8_fp8 v[200:203], a[134:135], a[78:79], v[200:203]// 000000009CB4: D3F300C8 1F229D86
	s_add_u32 s60, 0x100, s80                                  // 000000009CBC: 803C50FF 00000100
	s_cmp_lt_u32 s60, s81                                      // 000000009CC4: BF0A513C
	s_cselect_b32 s58, s58, 0                                  // 000000009CC8: 853A803A
	v_mfma_f32_16x16x32_fp8_fp8 v[220:223], a[136:137], a[72:73], v[220:223]// 000000009CCC: D3F300DC 1F729188
	s_add_u32 s24, s58, s24                                    // 000000009CD4: 8018183A
	s_addc_u32 s25, 0, s25                                     // 000000009CD8: 82191980
	v_mfma_f32_16x16x32_fp8_fp8 v[220:223], a[138:139], a[74:75], v[220:223]// 000000009CDC: D3F300DC 1F72958A
	s_add_u32 s20, s57, s20                                    // 000000009CE4: 80141439
	s_addc_u32 s21, 0, s21                                     // 000000009CE8: 82151580
	v_mfma_f32_16x16x32_fp8_fp8 v[220:223], a[140:141], a[76:77], v[220:223]// 000000009CEC: D3F300DC 1F72998C
	s_add_u32 s84, s83, s84                                    // 000000009CF4: 80545453
	s_addc_u32 s85, 0, s85                                     // 000000009CF8: 82555580
	v_mfma_f32_16x16x32_fp8_fp8 v[220:223], a[142:143], a[78:79], v[220:223]// 000000009CFC: D3F300DC 1F729D8E
	s_addk_i32 s80, 0x80                                       // 000000009D04: B7500080
	s_cmp_lt_i32 s80, s81                                      // 000000009D08: BF045150
	s_cbranch_scc0 label_1CC8                                  // 000000009D0C: BF840001
	s_branch label_195B                                        // 000000009D10: BF82FC93

0000000000009d14 <label_1CC8>:
	v_mul_f32_dpp v64, v24, v64 row_newbcast:0 row_mask:0xf bank_mask:0xf// 000000009D14: 0A8080FA FF015018
	v_mul_f32_dpp v65, v24, v65 row_newbcast:1 row_mask:0xf bank_mask:0xf// 000000009D1C: 0A8282FA FF015118
	v_mul_f32_dpp v66, v24, v66 row_newbcast:2 row_mask:0xf bank_mask:0xf// 000000009D24: 0A8484FA FF015218
	v_mul_f32_dpp v67, v24, v67 row_newbcast:3 row_mask:0xf bank_mask:0xf// 000000009D2C: 0A8686FA FF015318
	v_mul_f32_dpp v68, v24, v68 row_newbcast:0 row_mask:0xf bank_mask:0xf// 000000009D34: 0A8888FA FF015018
	v_mul_f32_dpp v69, v24, v69 row_newbcast:1 row_mask:0xf bank_mask:0xf// 000000009D3C: 0A8A8AFA FF015118
	v_mul_f32_dpp v70, v24, v70 row_newbcast:2 row_mask:0xf bank_mask:0xf// 000000009D44: 0A8C8CFA FF015218
	v_mul_f32_dpp v71, v24, v71 row_newbcast:3 row_mask:0xf bank_mask:0xf// 000000009D4C: 0A8E8EFA FF015318
	v_mul_f32_dpp v72, v24, v72 row_newbcast:0 row_mask:0xf bank_mask:0xf// 000000009D54: 0A9090FA FF015018
	v_mul_f32_dpp v73, v24, v73 row_newbcast:1 row_mask:0xf bank_mask:0xf// 000000009D5C: 0A9292FA FF015118
	v_mul_f32_dpp v74, v24, v74 row_newbcast:2 row_mask:0xf bank_mask:0xf// 000000009D64: 0A9494FA FF015218
	v_mul_f32_dpp v75, v24, v75 row_newbcast:3 row_mask:0xf bank_mask:0xf// 000000009D6C: 0A9696FA FF015318
	v_mul_f32_dpp v76, v24, v76 row_newbcast:0 row_mask:0xf bank_mask:0xf// 000000009D74: 0A9898FA FF015018
	v_mul_f32_dpp v77, v24, v77 row_newbcast:1 row_mask:0xf bank_mask:0xf// 000000009D7C: 0A9A9AFA FF015118
	v_mul_f32_dpp v78, v24, v78 row_newbcast:2 row_mask:0xf bank_mask:0xf// 000000009D84: 0A9C9CFA FF015218
	v_mul_f32_dpp v79, v24, v79 row_newbcast:3 row_mask:0xf bank_mask:0xf// 000000009D8C: 0A9E9EFA FF015318
	v_mul_f32_dpp v80, v24, v80 row_newbcast:0 row_mask:0xf bank_mask:0xf// 000000009D94: 0AA0A0FA FF015018
	v_mul_f32_dpp v81, v24, v81 row_newbcast:1 row_mask:0xf bank_mask:0xf// 000000009D9C: 0AA2A2FA FF015118
	v_mul_f32_dpp v82, v24, v82 row_newbcast:2 row_mask:0xf bank_mask:0xf// 000000009DA4: 0AA4A4FA FF015218
	v_mul_f32_dpp v83, v24, v83 row_newbcast:3 row_mask:0xf bank_mask:0xf// 000000009DAC: 0AA6A6FA FF015318
	v_mul_f32_dpp v84, v24, v84 row_newbcast:4 row_mask:0xf bank_mask:0xf// 000000009DB4: 0AA8A8FA FF015418
	v_mul_f32_dpp v85, v24, v85 row_newbcast:5 row_mask:0xf bank_mask:0xf// 000000009DBC: 0AAAAAFA FF015518
	v_mul_f32_dpp v86, v24, v86 row_newbcast:6 row_mask:0xf bank_mask:0xf// 000000009DC4: 0AACACFA FF015618
	v_mul_f32_dpp v87, v24, v87 row_newbcast:7 row_mask:0xf bank_mask:0xf// 000000009DCC: 0AAEAEFA FF015718
	v_mul_f32_dpp v88, v24, v88 row_newbcast:4 row_mask:0xf bank_mask:0xf// 000000009DD4: 0AB0B0FA FF015418
	v_mul_f32_dpp v89, v24, v89 row_newbcast:5 row_mask:0xf bank_mask:0xf// 000000009DDC: 0AB2B2FA FF015518
	v_mul_f32_dpp v90, v24, v90 row_newbcast:6 row_mask:0xf bank_mask:0xf// 000000009DE4: 0AB4B4FA FF015618
	v_mul_f32_dpp v91, v24, v91 row_newbcast:7 row_mask:0xf bank_mask:0xf// 000000009DEC: 0AB6B6FA FF015718
	v_mul_f32_dpp v92, v24, v92 row_newbcast:4 row_mask:0xf bank_mask:0xf// 000000009DF4: 0AB8B8FA FF015418
	v_mul_f32_dpp v93, v24, v93 row_newbcast:5 row_mask:0xf bank_mask:0xf// 000000009DFC: 0ABABAFA FF015518
	v_mul_f32_dpp v94, v24, v94 row_newbcast:6 row_mask:0xf bank_mask:0xf// 000000009E04: 0ABCBCFA FF015618
	v_mul_f32_dpp v95, v24, v95 row_newbcast:7 row_mask:0xf bank_mask:0xf// 000000009E0C: 0ABEBEFA FF015718
	v_mul_f32_dpp v96, v24, v96 row_newbcast:4 row_mask:0xf bank_mask:0xf// 000000009E14: 0AC0C0FA FF015418
	v_mul_f32_dpp v97, v24, v97 row_newbcast:5 row_mask:0xf bank_mask:0xf// 000000009E1C: 0AC2C2FA FF015518
	v_mul_f32_dpp v98, v24, v98 row_newbcast:6 row_mask:0xf bank_mask:0xf// 000000009E24: 0AC4C4FA FF015618
	v_mul_f32_dpp v99, v24, v99 row_newbcast:7 row_mask:0xf bank_mask:0xf// 000000009E2C: 0AC6C6FA FF015718
	v_mul_f32_dpp v100, v24, v100 row_newbcast:4 row_mask:0xf bank_mask:0xf// 000000009E34: 0AC8C8FA FF015418
	v_mul_f32_dpp v101, v24, v101 row_newbcast:5 row_mask:0xf bank_mask:0xf// 000000009E3C: 0ACACAFA FF015518
	v_mul_f32_dpp v102, v24, v102 row_newbcast:6 row_mask:0xf bank_mask:0xf// 000000009E44: 0ACCCCFA FF015618
	v_mul_f32_dpp v103, v24, v103 row_newbcast:7 row_mask:0xf bank_mask:0xf// 000000009E4C: 0ACECEFA FF015718
	v_mul_f32_dpp v104, v24, v104 row_newbcast:8 row_mask:0xf bank_mask:0xf// 000000009E54: 0AD0D0FA FF015818
	v_mul_f32_dpp v105, v24, v105 row_newbcast:9 row_mask:0xf bank_mask:0xf// 000000009E5C: 0AD2D2FA FF015918
	v_mul_f32_dpp v106, v24, v106 row_newbcast:10 row_mask:0xf bank_mask:0xf// 000000009E64: 0AD4D4FA FF015A18
	v_mul_f32_dpp v107, v24, v107 row_newbcast:11 row_mask:0xf bank_mask:0xf// 000000009E6C: 0AD6D6FA FF015B18
	v_mul_f32_dpp v108, v24, v108 row_newbcast:8 row_mask:0xf bank_mask:0xf// 000000009E74: 0AD8D8FA FF015818
	v_mul_f32_dpp v109, v24, v109 row_newbcast:9 row_mask:0xf bank_mask:0xf// 000000009E7C: 0ADADAFA FF015918
	v_mul_f32_dpp v110, v24, v110 row_newbcast:10 row_mask:0xf bank_mask:0xf// 000000009E84: 0ADCDCFA FF015A18
	v_mul_f32_dpp v111, v24, v111 row_newbcast:11 row_mask:0xf bank_mask:0xf// 000000009E8C: 0ADEDEFA FF015B18
	v_mul_f32_dpp v112, v24, v112 row_newbcast:8 row_mask:0xf bank_mask:0xf// 000000009E94: 0AE0E0FA FF015818
	v_mul_f32_dpp v113, v24, v113 row_newbcast:9 row_mask:0xf bank_mask:0xf// 000000009E9C: 0AE2E2FA FF015918
	v_mul_f32_dpp v114, v24, v114 row_newbcast:10 row_mask:0xf bank_mask:0xf// 000000009EA4: 0AE4E4FA FF015A18
	v_mul_f32_dpp v115, v24, v115 row_newbcast:11 row_mask:0xf bank_mask:0xf// 000000009EAC: 0AE6E6FA FF015B18
	v_mul_f32_dpp v116, v24, v116 row_newbcast:8 row_mask:0xf bank_mask:0xf// 000000009EB4: 0AE8E8FA FF015818
	v_mul_f32_dpp v117, v24, v117 row_newbcast:9 row_mask:0xf bank_mask:0xf// 000000009EBC: 0AEAEAFA FF015918
	v_mul_f32_dpp v118, v24, v118 row_newbcast:10 row_mask:0xf bank_mask:0xf// 000000009EC4: 0AECECFA FF015A18
	v_mul_f32_dpp v119, v24, v119 row_newbcast:11 row_mask:0xf bank_mask:0xf// 000000009ECC: 0AEEEEFA FF015B18
	v_mul_f32_dpp v120, v24, v120 row_newbcast:8 row_mask:0xf bank_mask:0xf// 000000009ED4: 0AF0F0FA FF015818
	v_mul_f32_dpp v121, v24, v121 row_newbcast:9 row_mask:0xf bank_mask:0xf// 000000009EDC: 0AF2F2FA FF015918
	v_mul_f32_dpp v122, v24, v122 row_newbcast:10 row_mask:0xf bank_mask:0xf// 000000009EE4: 0AF4F4FA FF015A18
	v_mul_f32_dpp v123, v24, v123 row_newbcast:11 row_mask:0xf bank_mask:0xf// 000000009EEC: 0AF6F6FA FF015B18
	v_mul_f32_dpp v124, v24, v124 row_newbcast:12 row_mask:0xf bank_mask:0xf// 000000009EF4: 0AF8F8FA FF015C18
	v_mul_f32_dpp v125, v24, v125 row_newbcast:13 row_mask:0xf bank_mask:0xf// 000000009EFC: 0AFAFAFA FF015D18
	v_mul_f32_dpp v126, v24, v126 row_newbcast:14 row_mask:0xf bank_mask:0xf// 000000009F04: 0AFCFCFA FF015E18
	v_mul_f32_dpp v127, v24, v127 row_newbcast:15 row_mask:0xf bank_mask:0xf// 000000009F0C: 0AFEFEFA FF015F18
	v_mul_f32_dpp v128, v24, v128 row_newbcast:12 row_mask:0xf bank_mask:0xf// 000000009F14: 0B0100FA FF015C18
	v_mul_f32_dpp v129, v24, v129 row_newbcast:13 row_mask:0xf bank_mask:0xf// 000000009F1C: 0B0302FA FF015D18
	v_mul_f32_dpp v130, v24, v130 row_newbcast:14 row_mask:0xf bank_mask:0xf// 000000009F24: 0B0504FA FF015E18
	v_mul_f32_dpp v131, v24, v131 row_newbcast:15 row_mask:0xf bank_mask:0xf// 000000009F2C: 0B0706FA FF015F18
	v_mul_f32_dpp v132, v24, v132 row_newbcast:12 row_mask:0xf bank_mask:0xf// 000000009F34: 0B0908FA FF015C18
	v_mul_f32_dpp v133, v24, v133 row_newbcast:13 row_mask:0xf bank_mask:0xf// 000000009F3C: 0B0B0AFA FF015D18
	v_mul_f32_dpp v134, v24, v134 row_newbcast:14 row_mask:0xf bank_mask:0xf// 000000009F44: 0B0D0CFA FF015E18
	v_mul_f32_dpp v135, v24, v135 row_newbcast:15 row_mask:0xf bank_mask:0xf// 000000009F4C: 0B0F0EFA FF015F18
	v_mul_f32_dpp v136, v24, v136 row_newbcast:12 row_mask:0xf bank_mask:0xf// 000000009F54: 0B1110FA FF015C18
	v_mul_f32_dpp v137, v24, v137 row_newbcast:13 row_mask:0xf bank_mask:0xf// 000000009F5C: 0B1312FA FF015D18
	v_mul_f32_dpp v138, v24, v138 row_newbcast:14 row_mask:0xf bank_mask:0xf// 000000009F64: 0B1514FA FF015E18
	v_mul_f32_dpp v139, v24, v139 row_newbcast:15 row_mask:0xf bank_mask:0xf// 000000009F6C: 0B1716FA FF015F18
	v_mul_f32_dpp v140, v24, v140 row_newbcast:12 row_mask:0xf bank_mask:0xf// 000000009F74: 0B1918FA FF015C18
	v_mul_f32_dpp v141, v24, v141 row_newbcast:13 row_mask:0xf bank_mask:0xf// 000000009F7C: 0B1B1AFA FF015D18
	v_mul_f32_dpp v142, v24, v142 row_newbcast:14 row_mask:0xf bank_mask:0xf// 000000009F84: 0B1D1CFA FF015E18
	v_mul_f32_dpp v143, v24, v143 row_newbcast:15 row_mask:0xf bank_mask:0xf// 000000009F8C: 0B1F1EFA FF015F18
	v_mul_f32_dpp v144, v26, v144 row_newbcast:0 row_mask:0xf bank_mask:0xf// 000000009F94: 0B2120FA FF01501A
	v_mul_f32_dpp v145, v26, v145 row_newbcast:1 row_mask:0xf bank_mask:0xf// 000000009F9C: 0B2322FA FF01511A
	v_mul_f32_dpp v146, v26, v146 row_newbcast:2 row_mask:0xf bank_mask:0xf// 000000009FA4: 0B2524FA FF01521A
	v_mul_f32_dpp v147, v26, v147 row_newbcast:3 row_mask:0xf bank_mask:0xf// 000000009FAC: 0B2726FA FF01531A
	v_mul_f32_dpp v148, v26, v148 row_newbcast:0 row_mask:0xf bank_mask:0xf// 000000009FB4: 0B2928FA FF01501A
	v_mul_f32_dpp v149, v26, v149 row_newbcast:1 row_mask:0xf bank_mask:0xf// 000000009FBC: 0B2B2AFA FF01511A
	v_mul_f32_dpp v150, v26, v150 row_newbcast:2 row_mask:0xf bank_mask:0xf// 000000009FC4: 0B2D2CFA FF01521A
	v_mul_f32_dpp v151, v26, v151 row_newbcast:3 row_mask:0xf bank_mask:0xf// 000000009FCC: 0B2F2EFA FF01531A
	v_mul_f32_dpp v152, v26, v152 row_newbcast:0 row_mask:0xf bank_mask:0xf// 000000009FD4: 0B3130FA FF01501A
	v_mul_f32_dpp v153, v26, v153 row_newbcast:1 row_mask:0xf bank_mask:0xf// 000000009FDC: 0B3332FA FF01511A
	v_mul_f32_dpp v154, v26, v154 row_newbcast:2 row_mask:0xf bank_mask:0xf// 000000009FE4: 0B3534FA FF01521A
	v_mul_f32_dpp v155, v26, v155 row_newbcast:3 row_mask:0xf bank_mask:0xf// 000000009FEC: 0B3736FA FF01531A
	v_mul_f32_dpp v156, v26, v156 row_newbcast:0 row_mask:0xf bank_mask:0xf// 000000009FF4: 0B3938FA FF01501A
	v_mul_f32_dpp v157, v26, v157 row_newbcast:1 row_mask:0xf bank_mask:0xf// 000000009FFC: 0B3B3AFA FF01511A
	v_mul_f32_dpp v158, v26, v158 row_newbcast:2 row_mask:0xf bank_mask:0xf// 00000000A004: 0B3D3CFA FF01521A
	v_mul_f32_dpp v159, v26, v159 row_newbcast:3 row_mask:0xf bank_mask:0xf// 00000000A00C: 0B3F3EFA FF01531A
	v_mul_f32_dpp v160, v26, v160 row_newbcast:0 row_mask:0xf bank_mask:0xf// 00000000A014: 0B4140FA FF01501A
	v_mul_f32_dpp v161, v26, v161 row_newbcast:1 row_mask:0xf bank_mask:0xf// 00000000A01C: 0B4342FA FF01511A
	v_mul_f32_dpp v162, v26, v162 row_newbcast:2 row_mask:0xf bank_mask:0xf// 00000000A024: 0B4544FA FF01521A
	v_mul_f32_dpp v163, v26, v163 row_newbcast:3 row_mask:0xf bank_mask:0xf// 00000000A02C: 0B4746FA FF01531A
	v_mul_f32_dpp v164, v26, v164 row_newbcast:4 row_mask:0xf bank_mask:0xf// 00000000A034: 0B4948FA FF01541A
	v_mul_f32_dpp v165, v26, v165 row_newbcast:5 row_mask:0xf bank_mask:0xf// 00000000A03C: 0B4B4AFA FF01551A
	v_mul_f32_dpp v166, v26, v166 row_newbcast:6 row_mask:0xf bank_mask:0xf// 00000000A044: 0B4D4CFA FF01561A
	v_mul_f32_dpp v167, v26, v167 row_newbcast:7 row_mask:0xf bank_mask:0xf// 00000000A04C: 0B4F4EFA FF01571A
	v_mul_f32_dpp v168, v26, v168 row_newbcast:4 row_mask:0xf bank_mask:0xf// 00000000A054: 0B5150FA FF01541A
	v_mul_f32_dpp v169, v26, v169 row_newbcast:5 row_mask:0xf bank_mask:0xf// 00000000A05C: 0B5352FA FF01551A
	v_mul_f32_dpp v170, v26, v170 row_newbcast:6 row_mask:0xf bank_mask:0xf// 00000000A064: 0B5554FA FF01561A
	v_mul_f32_dpp v171, v26, v171 row_newbcast:7 row_mask:0xf bank_mask:0xf// 00000000A06C: 0B5756FA FF01571A
	v_mul_f32_dpp v172, v26, v172 row_newbcast:4 row_mask:0xf bank_mask:0xf// 00000000A074: 0B5958FA FF01541A
	v_mul_f32_dpp v173, v26, v173 row_newbcast:5 row_mask:0xf bank_mask:0xf// 00000000A07C: 0B5B5AFA FF01551A
	v_mul_f32_dpp v174, v26, v174 row_newbcast:6 row_mask:0xf bank_mask:0xf// 00000000A084: 0B5D5CFA FF01561A
	v_mul_f32_dpp v175, v26, v175 row_newbcast:7 row_mask:0xf bank_mask:0xf// 00000000A08C: 0B5F5EFA FF01571A
	v_mul_f32_dpp v176, v26, v176 row_newbcast:4 row_mask:0xf bank_mask:0xf// 00000000A094: 0B6160FA FF01541A
	v_mul_f32_dpp v177, v26, v177 row_newbcast:5 row_mask:0xf bank_mask:0xf// 00000000A09C: 0B6362FA FF01551A
	v_mul_f32_dpp v178, v26, v178 row_newbcast:6 row_mask:0xf bank_mask:0xf// 00000000A0A4: 0B6564FA FF01561A
	v_mul_f32_dpp v179, v26, v179 row_newbcast:7 row_mask:0xf bank_mask:0xf// 00000000A0AC: 0B6766FA FF01571A
	v_mul_f32_dpp v180, v26, v180 row_newbcast:4 row_mask:0xf bank_mask:0xf// 00000000A0B4: 0B6968FA FF01541A
	v_mul_f32_dpp v181, v26, v181 row_newbcast:5 row_mask:0xf bank_mask:0xf// 00000000A0BC: 0B6B6AFA FF01551A
	v_mul_f32_dpp v182, v26, v182 row_newbcast:6 row_mask:0xf bank_mask:0xf// 00000000A0C4: 0B6D6CFA FF01561A
	v_mul_f32_dpp v183, v26, v183 row_newbcast:7 row_mask:0xf bank_mask:0xf// 00000000A0CC: 0B6F6EFA FF01571A
	v_mul_f32_dpp v184, v26, v184 row_newbcast:8 row_mask:0xf bank_mask:0xf// 00000000A0D4: 0B7170FA FF01581A
	v_mul_f32_dpp v185, v26, v185 row_newbcast:9 row_mask:0xf bank_mask:0xf// 00000000A0DC: 0B7372FA FF01591A
	v_mul_f32_dpp v186, v26, v186 row_newbcast:10 row_mask:0xf bank_mask:0xf// 00000000A0E4: 0B7574FA FF015A1A
	v_mul_f32_dpp v187, v26, v187 row_newbcast:11 row_mask:0xf bank_mask:0xf// 00000000A0EC: 0B7776FA FF015B1A
	v_mul_f32_dpp v188, v26, v188 row_newbcast:8 row_mask:0xf bank_mask:0xf// 00000000A0F4: 0B7978FA FF01581A
	v_mul_f32_dpp v189, v26, v189 row_newbcast:9 row_mask:0xf bank_mask:0xf// 00000000A0FC: 0B7B7AFA FF01591A
	v_mul_f32_dpp v190, v26, v190 row_newbcast:10 row_mask:0xf bank_mask:0xf// 00000000A104: 0B7D7CFA FF015A1A
	v_mul_f32_dpp v191, v26, v191 row_newbcast:11 row_mask:0xf bank_mask:0xf// 00000000A10C: 0B7F7EFA FF015B1A
	v_mul_f32_dpp v192, v26, v192 row_newbcast:8 row_mask:0xf bank_mask:0xf// 00000000A114: 0B8180FA FF01581A
	v_mul_f32_dpp v193, v26, v193 row_newbcast:9 row_mask:0xf bank_mask:0xf// 00000000A11C: 0B8382FA FF01591A
	v_mul_f32_dpp v194, v26, v194 row_newbcast:10 row_mask:0xf bank_mask:0xf// 00000000A124: 0B8584FA FF015A1A
	v_mul_f32_dpp v195, v26, v195 row_newbcast:11 row_mask:0xf bank_mask:0xf// 00000000A12C: 0B8786FA FF015B1A
	v_mul_f32_dpp v196, v26, v196 row_newbcast:8 row_mask:0xf bank_mask:0xf// 00000000A134: 0B8988FA FF01581A
	v_mul_f32_dpp v197, v26, v197 row_newbcast:9 row_mask:0xf bank_mask:0xf// 00000000A13C: 0B8B8AFA FF01591A
	v_mul_f32_dpp v198, v26, v198 row_newbcast:10 row_mask:0xf bank_mask:0xf// 00000000A144: 0B8D8CFA FF015A1A
	v_mul_f32_dpp v199, v26, v199 row_newbcast:11 row_mask:0xf bank_mask:0xf// 00000000A14C: 0B8F8EFA FF015B1A
	v_mul_f32_dpp v200, v26, v200 row_newbcast:8 row_mask:0xf bank_mask:0xf// 00000000A154: 0B9190FA FF01581A
	v_mul_f32_dpp v201, v26, v201 row_newbcast:9 row_mask:0xf bank_mask:0xf// 00000000A15C: 0B9392FA FF01591A
	v_mul_f32_dpp v202, v26, v202 row_newbcast:10 row_mask:0xf bank_mask:0xf// 00000000A164: 0B9594FA FF015A1A
	v_mul_f32_dpp v203, v26, v203 row_newbcast:11 row_mask:0xf bank_mask:0xf// 00000000A16C: 0B9796FA FF015B1A
	v_mul_f32_dpp v204, v26, v204 row_newbcast:12 row_mask:0xf bank_mask:0xf// 00000000A174: 0B9998FA FF015C1A
	v_mul_f32_dpp v205, v26, v205 row_newbcast:13 row_mask:0xf bank_mask:0xf// 00000000A17C: 0B9B9AFA FF015D1A
	v_mul_f32_dpp v206, v26, v206 row_newbcast:14 row_mask:0xf bank_mask:0xf// 00000000A184: 0B9D9CFA FF015E1A
	v_mul_f32_dpp v207, v26, v207 row_newbcast:15 row_mask:0xf bank_mask:0xf// 00000000A18C: 0B9F9EFA FF015F1A
	v_mul_f32_dpp v208, v26, v208 row_newbcast:12 row_mask:0xf bank_mask:0xf// 00000000A194: 0BA1A0FA FF015C1A
	v_mul_f32_dpp v209, v26, v209 row_newbcast:13 row_mask:0xf bank_mask:0xf// 00000000A19C: 0BA3A2FA FF015D1A
	v_mul_f32_dpp v210, v26, v210 row_newbcast:14 row_mask:0xf bank_mask:0xf// 00000000A1A4: 0BA5A4FA FF015E1A
	v_mul_f32_dpp v211, v26, v211 row_newbcast:15 row_mask:0xf bank_mask:0xf// 00000000A1AC: 0BA7A6FA FF015F1A
	v_mul_f32_dpp v212, v26, v212 row_newbcast:12 row_mask:0xf bank_mask:0xf// 00000000A1B4: 0BA9A8FA FF015C1A
	v_mul_f32_dpp v213, v26, v213 row_newbcast:13 row_mask:0xf bank_mask:0xf// 00000000A1BC: 0BABAAFA FF015D1A
	v_mul_f32_dpp v214, v26, v214 row_newbcast:14 row_mask:0xf bank_mask:0xf// 00000000A1C4: 0BADACFA FF015E1A
	v_mul_f32_dpp v215, v26, v215 row_newbcast:15 row_mask:0xf bank_mask:0xf// 00000000A1CC: 0BAFAEFA FF015F1A
	v_mul_f32_dpp v216, v26, v216 row_newbcast:12 row_mask:0xf bank_mask:0xf// 00000000A1D4: 0BB1B0FA FF015C1A
	v_mul_f32_dpp v217, v26, v217 row_newbcast:13 row_mask:0xf bank_mask:0xf// 00000000A1DC: 0BB3B2FA FF015D1A
	v_mul_f32_dpp v218, v26, v218 row_newbcast:14 row_mask:0xf bank_mask:0xf// 00000000A1E4: 0BB5B4FA FF015E1A
	v_mul_f32_dpp v219, v26, v219 row_newbcast:15 row_mask:0xf bank_mask:0xf// 00000000A1EC: 0BB7B6FA FF015F1A
	v_mul_f32_dpp v220, v26, v220 row_newbcast:12 row_mask:0xf bank_mask:0xf// 00000000A1F4: 0BB9B8FA FF015C1A
	v_mul_f32_dpp v221, v26, v221 row_newbcast:13 row_mask:0xf bank_mask:0xf// 00000000A1FC: 0BBBBAFA FF015D1A
	v_mul_f32_dpp v222, v26, v222 row_newbcast:14 row_mask:0xf bank_mask:0xf// 00000000A204: 0BBDBCFA FF015E1A
	v_mul_f32_dpp v223, v26, v223 row_newbcast:15 row_mask:0xf bank_mask:0xf// 00000000A20C: 0BBFBEFA FF015F1A
	v_mul_f32_e32 v33, v33, v224                               // 00000000A214: 0A43C121
	v_mov_b32_e32 v4, v33                                      // 00000000A218: 7E080321
	v_mov_b32_e32 v5, v4                                       // 00000000A21C: 7E0A0304
	v_pk_mul_f32 v[64:65], v[4:5], v[64:65]                    // 00000000A220: D3B14040 18028104
	v_pk_mul_f32 v[144:145], v[4:5], v[144:145]                // 00000000A228: D3B14090 18032104
	v_pk_mul_f32 v[66:67], v[4:5], v[66:67]                    // 00000000A230: D3B14042 18028504
	v_pk_mul_f32 v[146:147], v[4:5], v[146:147]                // 00000000A238: D3B14092 18032504
	v_pk_mul_f32 v[84:85], v[4:5], v[84:85]                    // 00000000A240: D3B14054 1802A904
	v_pk_mul_f32 v[164:165], v[4:5], v[164:165]                // 00000000A248: D3B140A4 18034904
	v_pk_mul_f32 v[86:87], v[4:5], v[86:87]                    // 00000000A250: D3B14056 1802AD04
	v_pk_mul_f32 v[166:167], v[4:5], v[166:167]                // 00000000A258: D3B140A6 18034D04
	v_pk_mul_f32 v[104:105], v[4:5], v[104:105]                // 00000000A260: D3B14068 1802D104
	v_pk_mul_f32 v[184:185], v[4:5], v[184:185]                // 00000000A268: D3B140B8 18037104
	v_pk_mul_f32 v[106:107], v[4:5], v[106:107]                // 00000000A270: D3B1406A 1802D504
	v_pk_mul_f32 v[186:187], v[4:5], v[186:187]                // 00000000A278: D3B140BA 18037504
	v_pk_mul_f32 v[124:125], v[4:5], v[124:125]                // 00000000A280: D3B1407C 1802F904
	v_pk_mul_f32 v[204:205], v[4:5], v[204:205]                // 00000000A288: D3B140CC 18039904
	v_pk_mul_f32 v[126:127], v[4:5], v[126:127]                // 00000000A290: D3B1407E 1802FD04
	v_pk_mul_f32 v[206:207], v[4:5], v[206:207]                // 00000000A298: D3B140CE 18039D04
	v_mul_f32_e32 v34, v34, v225                               // 00000000A2A0: 0A45C322
	v_mov_b32_e32 v4, v34                                      // 00000000A2A4: 7E080322
	v_mov_b32_e32 v5, v4                                       // 00000000A2A8: 7E0A0304
	v_pk_mul_f32 v[68:69], v[4:5], v[68:69]                    // 00000000A2AC: D3B14044 18028904
	v_pk_mul_f32 v[148:149], v[4:5], v[148:149]                // 00000000A2B4: D3B14094 18032904
	v_pk_mul_f32 v[70:71], v[4:5], v[70:71]                    // 00000000A2BC: D3B14046 18028D04
	v_pk_mul_f32 v[150:151], v[4:5], v[150:151]                // 00000000A2C4: D3B14096 18032D04
	v_pk_mul_f32 v[88:89], v[4:5], v[88:89]                    // 00000000A2CC: D3B14058 1802B104
	v_pk_mul_f32 v[168:169], v[4:5], v[168:169]                // 00000000A2D4: D3B140A8 18035104
	v_pk_mul_f32 v[90:91], v[4:5], v[90:91]                    // 00000000A2DC: D3B1405A 1802B504
	v_pk_mul_f32 v[170:171], v[4:5], v[170:171]                // 00000000A2E4: D3B140AA 18035504
	v_pk_mul_f32 v[108:109], v[4:5], v[108:109]                // 00000000A2EC: D3B1406C 1802D904
	v_pk_mul_f32 v[188:189], v[4:5], v[188:189]                // 00000000A2F4: D3B140BC 18037904
	v_pk_mul_f32 v[110:111], v[4:5], v[110:111]                // 00000000A2FC: D3B1406E 1802DD04
	v_pk_mul_f32 v[190:191], v[4:5], v[190:191]                // 00000000A304: D3B140BE 18037D04
	v_pk_mul_f32 v[128:129], v[4:5], v[128:129]                // 00000000A30C: D3B14080 18030104
	v_pk_mul_f32 v[208:209], v[4:5], v[208:209]                // 00000000A314: D3B140D0 1803A104
	v_pk_mul_f32 v[130:131], v[4:5], v[130:131]                // 00000000A31C: D3B14082 18030504
	v_pk_mul_f32 v[210:211], v[4:5], v[210:211]                // 00000000A324: D3B140D2 1803A504
	v_mul_f32_e32 v35, v35, v226                               // 00000000A32C: 0A47C523
	v_mov_b32_e32 v4, v35                                      // 00000000A330: 7E080323
	v_mov_b32_e32 v5, v4                                       // 00000000A334: 7E0A0304
	v_pk_mul_f32 v[72:73], v[4:5], v[72:73]                    // 00000000A338: D3B14048 18029104
	v_pk_mul_f32 v[152:153], v[4:5], v[152:153]                // 00000000A340: D3B14098 18033104
	v_pk_mul_f32 v[74:75], v[4:5], v[74:75]                    // 00000000A348: D3B1404A 18029504
	v_pk_mul_f32 v[154:155], v[4:5], v[154:155]                // 00000000A350: D3B1409A 18033504
	v_pk_mul_f32 v[92:93], v[4:5], v[92:93]                    // 00000000A358: D3B1405C 1802B904
	v_pk_mul_f32 v[172:173], v[4:5], v[172:173]                // 00000000A360: D3B140AC 18035904
	v_pk_mul_f32 v[94:95], v[4:5], v[94:95]                    // 00000000A368: D3B1405E 1802BD04
	v_pk_mul_f32 v[174:175], v[4:5], v[174:175]                // 00000000A370: D3B140AE 18035D04
	v_pk_mul_f32 v[112:113], v[4:5], v[112:113]                // 00000000A378: D3B14070 1802E104
	v_pk_mul_f32 v[192:193], v[4:5], v[192:193]                // 00000000A380: D3B140C0 18038104
	v_pk_mul_f32 v[114:115], v[4:5], v[114:115]                // 00000000A388: D3B14072 1802E504
	v_pk_mul_f32 v[194:195], v[4:5], v[194:195]                // 00000000A390: D3B140C2 18038504
	v_pk_mul_f32 v[132:133], v[4:5], v[132:133]                // 00000000A398: D3B14084 18030904
	v_pk_mul_f32 v[212:213], v[4:5], v[212:213]                // 00000000A3A0: D3B140D4 1803A904
	v_pk_mul_f32 v[134:135], v[4:5], v[134:135]                // 00000000A3A8: D3B14086 18030D04
	v_pk_mul_f32 v[214:215], v[4:5], v[214:215]                // 00000000A3B0: D3B140D6 1803AD04
	v_mul_f32_e32 v36, v36, v227                               // 00000000A3B8: 0A49C724
	v_mov_b32_e32 v4, v36                                      // 00000000A3BC: 7E080324
	v_mov_b32_e32 v5, v4                                       // 00000000A3C0: 7E0A0304
	v_pk_mul_f32 v[76:77], v[4:5], v[76:77]                    // 00000000A3C4: D3B1404C 18029904
	v_pk_mul_f32 v[156:157], v[4:5], v[156:157]                // 00000000A3CC: D3B1409C 18033904
	v_pk_mul_f32 v[78:79], v[4:5], v[78:79]                    // 00000000A3D4: D3B1404E 18029D04
	v_pk_mul_f32 v[158:159], v[4:5], v[158:159]                // 00000000A3DC: D3B1409E 18033D04
	v_pk_mul_f32 v[96:97], v[4:5], v[96:97]                    // 00000000A3E4: D3B14060 1802C104
	v_pk_mul_f32 v[176:177], v[4:5], v[176:177]                // 00000000A3EC: D3B140B0 18036104
	v_pk_mul_f32 v[98:99], v[4:5], v[98:99]                    // 00000000A3F4: D3B14062 1802C504
	v_pk_mul_f32 v[178:179], v[4:5], v[178:179]                // 00000000A3FC: D3B140B2 18036504
	v_pk_mul_f32 v[116:117], v[4:5], v[116:117]                // 00000000A404: D3B14074 1802E904
	v_pk_mul_f32 v[196:197], v[4:5], v[196:197]                // 00000000A40C: D3B140C4 18038904
	v_pk_mul_f32 v[118:119], v[4:5], v[118:119]                // 00000000A414: D3B14076 1802ED04
	v_pk_mul_f32 v[198:199], v[4:5], v[198:199]                // 00000000A41C: D3B140C6 18038D04
	v_pk_mul_f32 v[136:137], v[4:5], v[136:137]                // 00000000A424: D3B14088 18031104
	v_pk_mul_f32 v[216:217], v[4:5], v[216:217]                // 00000000A42C: D3B140D8 1803B104
	v_pk_mul_f32 v[138:139], v[4:5], v[138:139]                // 00000000A434: D3B1408A 18031504
	v_pk_mul_f32 v[218:219], v[4:5], v[218:219]                // 00000000A43C: D3B140DA 1803B504
	v_mul_f32_e32 v37, v37, v228                               // 00000000A444: 0A4BC925
	v_mov_b32_e32 v4, v37                                      // 00000000A448: 7E080325
	v_mov_b32_e32 v5, v4                                       // 00000000A44C: 7E0A0304
	v_pk_mul_f32 v[80:81], v[4:5], v[80:81]                    // 00000000A450: D3B14050 1802A104
	v_pk_mul_f32 v[160:161], v[4:5], v[160:161]                // 00000000A458: D3B140A0 18034104
	v_pk_mul_f32 v[82:83], v[4:5], v[82:83]                    // 00000000A460: D3B14052 1802A504
	v_pk_mul_f32 v[162:163], v[4:5], v[162:163]                // 00000000A468: D3B140A2 18034504
	v_pk_mul_f32 v[100:101], v[4:5], v[100:101]                // 00000000A470: D3B14064 1802C904
	v_pk_mul_f32 v[180:181], v[4:5], v[180:181]                // 00000000A478: D3B140B4 18036904
	v_pk_mul_f32 v[102:103], v[4:5], v[102:103]                // 00000000A480: D3B14066 1802CD04
	v_pk_mul_f32 v[182:183], v[4:5], v[182:183]                // 00000000A488: D3B140B6 18036D04
	v_pk_mul_f32 v[120:121], v[4:5], v[120:121]                // 00000000A490: D3B14078 1802F104
	v_pk_mul_f32 v[200:201], v[4:5], v[200:201]                // 00000000A498: D3B140C8 18039104
	v_pk_mul_f32 v[122:123], v[4:5], v[122:123]                // 00000000A4A0: D3B1407A 1802F504
	v_pk_mul_f32 v[202:203], v[4:5], v[202:203]                // 00000000A4A8: D3B140CA 18039504
	v_pk_mul_f32 v[140:141], v[4:5], v[140:141]                // 00000000A4B0: D3B1408C 18031904
	v_pk_mul_f32 v[220:221], v[4:5], v[220:221]                // 00000000A4B8: D3B140DC 1803B904
	v_pk_mul_f32 v[142:143], v[4:5], v[142:143]                // 00000000A4C0: D3B1408E 18031D04
	v_pk_mul_f32 v[222:223], v[4:5], v[222:223]                // 00000000A4C8: D3B140DE 1803BD04
	s_cmp_eq_u32 s88, 0                                        // 00000000A4D0: BF068058
	s_cbranch_scc0 label_28EE                                  // 00000000A4D4: BF840A35
	s_cmp_eq_u32 s89, 0                                        // 00000000A4D8: BF068059
	s_cbranch_scc1 label_21E0                                  // 00000000A4DC: BF850325
	v_mov_b32_e32 v8, v1                                       // 00000000A4E0: 7E100301
	v_mov_b32_e32 v9, v1                                       // 00000000A4E4: 7E120301
	s_mov_b32 s60, s6                                          // 00000000A4E8: BEBC0006
	s_mov_b32 s61, s6                                          // 00000000A4EC: BEBD0006
	v_pk_mul_f32 v[4:5], v[64:65], v[64:65]                    // 00000000A4F0: D3B14004 18028140
	v_pk_mul_f32 v[6:7], v[66:67], v[66:67]                    // 00000000A4F8: D3B14006 18028542
	v_pk_fma_f32 v[4:5], v[4:5], s[78:79], v[8:9]              // 00000000A500: D3B04004 1C209D04
	v_pk_fma_f32 v[6:7], v[6:7], s[78:79], v[8:9]              // 00000000A508: D3B04006 1C209D06
	v_pk_mul_f32 v[4:5], v[4:5], v[64:65]                      // 00000000A510: D3B14004 18028104
	v_pk_mul_f32 v[6:7], v[6:7], v[66:67]                      // 00000000A518: D3B14006 18028506
	v_pk_mul_f32 v[4:5], v[4:5], s[60:61]                      // 00000000A520: D3B14004 18007904
	v_pk_mul_f32 v[6:7], v[6:7], s[60:61]                      // 00000000A528: D3B14006 18007906
	v_exp_f32_e32 v4, v4                                       // 00000000A530: 7E084104
	v_exp_f32_e32 v5, v5                                       // 00000000A534: 7E0A4105
	v_exp_f32_e32 v6, v6                                       // 00000000A538: 7E0C4106
	v_exp_f32_e32 v7, v7                                       // 00000000A53C: 7E0E4107
	v_add_f32_e64 v4, v4, 1.0                                  // 00000000A540: D1010004 0001E504
	v_add_f32_e64 v5, v5, 1.0                                  // 00000000A548: D1010005 0001E505
	v_add_f32_e64 v6, v6, 1.0                                  // 00000000A550: D1010006 0001E506
	v_add_f32_e64 v7, v7, 1.0                                  // 00000000A558: D1010007 0001E507
	v_rcp_f32_e32 v4, v4                                       // 00000000A560: 7E084504
	v_rcp_f32_e32 v5, v5                                       // 00000000A564: 7E0A4505
	v_rcp_f32_e32 v6, v6                                       // 00000000A568: 7E0C4506
	v_rcp_f32_e32 v7, v7                                       // 00000000A56C: 7E0E4507
	v_mul_f32_e32 v64, v64, v4                                 // 00000000A570: 0A800940
	v_mul_f32_e32 v65, v65, v5                                 // 00000000A574: 0A820B41
	v_mul_f32_e32 v66, v66, v6                                 // 00000000A578: 0A840D42
	v_mul_f32_e32 v67, v67, v7                                 // 00000000A57C: 0A860F43
	v_mul_f32_e32 v64, v64, v144                               // 00000000A580: 0A812140
	v_mul_f32_e32 v65, v65, v145                               // 00000000A584: 0A832341
	v_mul_f32_e32 v66, v66, v146                               // 00000000A588: 0A852542
	v_mul_f32_e32 v67, v67, v147                               // 00000000A58C: 0A872743
	v_pk_mul_f32 v[4:5], v[68:69], v[68:69]                    // 00000000A590: D3B14004 18028944
	v_pk_mul_f32 v[6:7], v[70:71], v[70:71]                    // 00000000A598: D3B14006 18028D46
	v_pk_fma_f32 v[4:5], v[4:5], s[78:79], v[8:9]              // 00000000A5A0: D3B04004 1C209D04
	v_pk_fma_f32 v[6:7], v[6:7], s[78:79], v[8:9]              // 00000000A5A8: D3B04006 1C209D06
	v_pk_mul_f32 v[4:5], v[4:5], v[68:69]                      // 00000000A5B0: D3B14004 18028904
	v_pk_mul_f32 v[6:7], v[6:7], v[70:71]                      // 00000000A5B8: D3B14006 18028D06
	v_pk_mul_f32 v[4:5], v[4:5], s[60:61]                      // 00000000A5C0: D3B14004 18007904
	v_pk_mul_f32 v[6:7], v[6:7], s[60:61]                      // 00000000A5C8: D3B14006 18007906
	v_exp_f32_e32 v4, v4                                       // 00000000A5D0: 7E084104
	v_exp_f32_e32 v5, v5                                       // 00000000A5D4: 7E0A4105
	v_exp_f32_e32 v6, v6                                       // 00000000A5D8: 7E0C4106
	v_exp_f32_e32 v7, v7                                       // 00000000A5DC: 7E0E4107
	v_add_f32_e64 v4, v4, 1.0                                  // 00000000A5E0: D1010004 0001E504
	v_add_f32_e64 v5, v5, 1.0                                  // 00000000A5E8: D1010005 0001E505
	v_add_f32_e64 v6, v6, 1.0                                  // 00000000A5F0: D1010006 0001E506
	v_add_f32_e64 v7, v7, 1.0                                  // 00000000A5F8: D1010007 0001E507
	v_rcp_f32_e32 v4, v4                                       // 00000000A600: 7E084504
	v_rcp_f32_e32 v5, v5                                       // 00000000A604: 7E0A4505
	v_rcp_f32_e32 v6, v6                                       // 00000000A608: 7E0C4506
	v_rcp_f32_e32 v7, v7                                       // 00000000A60C: 7E0E4507
	v_mul_f32_e32 v68, v68, v4                                 // 00000000A610: 0A880944
	v_mul_f32_e32 v69, v69, v5                                 // 00000000A614: 0A8A0B45
	v_mul_f32_e32 v70, v70, v6                                 // 00000000A618: 0A8C0D46
	v_mul_f32_e32 v71, v71, v7                                 // 00000000A61C: 0A8E0F47
	v_mul_f32_e32 v68, v68, v148                               // 00000000A620: 0A892944
	v_mul_f32_e32 v69, v69, v149                               // 00000000A624: 0A8B2B45
	v_mul_f32_e32 v70, v70, v150                               // 00000000A628: 0A8D2D46
	v_mul_f32_e32 v71, v71, v151                               // 00000000A62C: 0A8F2F47
	v_pk_mul_f32 v[4:5], v[72:73], v[72:73]                    // 00000000A630: D3B14004 18029148
	v_pk_mul_f32 v[6:7], v[74:75], v[74:75]                    // 00000000A638: D3B14006 1802954A
	v_pk_fma_f32 v[4:5], v[4:5], s[78:79], v[8:9]              // 00000000A640: D3B04004 1C209D04
	v_pk_fma_f32 v[6:7], v[6:7], s[78:79], v[8:9]              // 00000000A648: D3B04006 1C209D06
	v_pk_mul_f32 v[4:5], v[4:5], v[72:73]                      // 00000000A650: D3B14004 18029104
	v_pk_mul_f32 v[6:7], v[6:7], v[74:75]                      // 00000000A658: D3B14006 18029506
	v_pk_mul_f32 v[4:5], v[4:5], s[60:61]                      // 00000000A660: D3B14004 18007904
	v_pk_mul_f32 v[6:7], v[6:7], s[60:61]                      // 00000000A668: D3B14006 18007906
	v_exp_f32_e32 v4, v4                                       // 00000000A670: 7E084104
	v_exp_f32_e32 v5, v5                                       // 00000000A674: 7E0A4105
	v_exp_f32_e32 v6, v6                                       // 00000000A678: 7E0C4106
	v_exp_f32_e32 v7, v7                                       // 00000000A67C: 7E0E4107
	v_add_f32_e64 v4, v4, 1.0                                  // 00000000A680: D1010004 0001E504
	v_add_f32_e64 v5, v5, 1.0                                  // 00000000A688: D1010005 0001E505
	v_add_f32_e64 v6, v6, 1.0                                  // 00000000A690: D1010006 0001E506
	v_add_f32_e64 v7, v7, 1.0                                  // 00000000A698: D1010007 0001E507
	v_rcp_f32_e32 v4, v4                                       // 00000000A6A0: 7E084504
	v_rcp_f32_e32 v5, v5                                       // 00000000A6A4: 7E0A4505
	v_rcp_f32_e32 v6, v6                                       // 00000000A6A8: 7E0C4506
	v_rcp_f32_e32 v7, v7                                       // 00000000A6AC: 7E0E4507
	v_mul_f32_e32 v72, v72, v4                                 // 00000000A6B0: 0A900948
	v_mul_f32_e32 v73, v73, v5                                 // 00000000A6B4: 0A920B49
	v_mul_f32_e32 v74, v74, v6                                 // 00000000A6B8: 0A940D4A
	v_mul_f32_e32 v75, v75, v7                                 // 00000000A6BC: 0A960F4B
	v_mul_f32_e32 v72, v72, v152                               // 00000000A6C0: 0A913148
	v_mul_f32_e32 v73, v73, v153                               // 00000000A6C4: 0A933349
	v_mul_f32_e32 v74, v74, v154                               // 00000000A6C8: 0A95354A
	v_mul_f32_e32 v75, v75, v155                               // 00000000A6CC: 0A97374B
	v_pk_mul_f32 v[4:5], v[76:77], v[76:77]                    // 00000000A6D0: D3B14004 1802994C
	v_pk_mul_f32 v[6:7], v[78:79], v[78:79]                    // 00000000A6D8: D3B14006 18029D4E
	v_pk_fma_f32 v[4:5], v[4:5], s[78:79], v[8:9]              // 00000000A6E0: D3B04004 1C209D04
	v_pk_fma_f32 v[6:7], v[6:7], s[78:79], v[8:9]              // 00000000A6E8: D3B04006 1C209D06
	v_pk_mul_f32 v[4:5], v[4:5], v[76:77]                      // 00000000A6F0: D3B14004 18029904
	v_pk_mul_f32 v[6:7], v[6:7], v[78:79]                      // 00000000A6F8: D3B14006 18029D06
	v_pk_mul_f32 v[4:5], v[4:5], s[60:61]                      // 00000000A700: D3B14004 18007904
	v_pk_mul_f32 v[6:7], v[6:7], s[60:61]                      // 00000000A708: D3B14006 18007906
	v_exp_f32_e32 v4, v4                                       // 00000000A710: 7E084104
	v_exp_f32_e32 v5, v5                                       // 00000000A714: 7E0A4105
	v_exp_f32_e32 v6, v6                                       // 00000000A718: 7E0C4106
	v_exp_f32_e32 v7, v7                                       // 00000000A71C: 7E0E4107
	v_add_f32_e64 v4, v4, 1.0                                  // 00000000A720: D1010004 0001E504
	v_add_f32_e64 v5, v5, 1.0                                  // 00000000A728: D1010005 0001E505
	v_add_f32_e64 v6, v6, 1.0                                  // 00000000A730: D1010006 0001E506
	v_add_f32_e64 v7, v7, 1.0                                  // 00000000A738: D1010007 0001E507
	v_rcp_f32_e32 v4, v4                                       // 00000000A740: 7E084504
	v_rcp_f32_e32 v5, v5                                       // 00000000A744: 7E0A4505
	v_rcp_f32_e32 v6, v6                                       // 00000000A748: 7E0C4506
	v_rcp_f32_e32 v7, v7                                       // 00000000A74C: 7E0E4507
	v_mul_f32_e32 v76, v76, v4                                 // 00000000A750: 0A98094C
	v_mul_f32_e32 v77, v77, v5                                 // 00000000A754: 0A9A0B4D
	v_mul_f32_e32 v78, v78, v6                                 // 00000000A758: 0A9C0D4E
	v_mul_f32_e32 v79, v79, v7                                 // 00000000A75C: 0A9E0F4F
	v_mul_f32_e32 v76, v76, v156                               // 00000000A760: 0A99394C
	v_mul_f32_e32 v77, v77, v157                               // 00000000A764: 0A9B3B4D
	v_mul_f32_e32 v78, v78, v158                               // 00000000A768: 0A9D3D4E
	v_mul_f32_e32 v79, v79, v159                               // 00000000A76C: 0A9F3F4F
	v_pk_mul_f32 v[4:5], v[80:81], v[80:81]                    // 00000000A770: D3B14004 1802A150
	v_pk_mul_f32 v[6:7], v[82:83], v[82:83]                    // 00000000A778: D3B14006 1802A552
	v_pk_fma_f32 v[4:5], v[4:5], s[78:79], v[8:9]              // 00000000A780: D3B04004 1C209D04
	v_pk_fma_f32 v[6:7], v[6:7], s[78:79], v[8:9]              // 00000000A788: D3B04006 1C209D06
	v_pk_mul_f32 v[4:5], v[4:5], v[80:81]                      // 00000000A790: D3B14004 1802A104
	v_pk_mul_f32 v[6:7], v[6:7], v[82:83]                      // 00000000A798: D3B14006 1802A506
	v_pk_mul_f32 v[4:5], v[4:5], s[60:61]                      // 00000000A7A0: D3B14004 18007904
	v_pk_mul_f32 v[6:7], v[6:7], s[60:61]                      // 00000000A7A8: D3B14006 18007906
	v_exp_f32_e32 v4, v4                                       // 00000000A7B0: 7E084104
	v_exp_f32_e32 v5, v5                                       // 00000000A7B4: 7E0A4105
	v_exp_f32_e32 v6, v6                                       // 00000000A7B8: 7E0C4106
	v_exp_f32_e32 v7, v7                                       // 00000000A7BC: 7E0E4107
	v_add_f32_e64 v4, v4, 1.0                                  // 00000000A7C0: D1010004 0001E504
	v_add_f32_e64 v5, v5, 1.0                                  // 00000000A7C8: D1010005 0001E505
	v_add_f32_e64 v6, v6, 1.0                                  // 00000000A7D0: D1010006 0001E506
	v_add_f32_e64 v7, v7, 1.0                                  // 00000000A7D8: D1010007 0001E507
	v_rcp_f32_e32 v4, v4                                       // 00000000A7E0: 7E084504
	v_rcp_f32_e32 v5, v5                                       // 00000000A7E4: 7E0A4505
	v_rcp_f32_e32 v6, v6                                       // 00000000A7E8: 7E0C4506
	v_rcp_f32_e32 v7, v7                                       // 00000000A7EC: 7E0E4507
	v_mul_f32_e32 v80, v80, v4                                 // 00000000A7F0: 0AA00950
	v_mul_f32_e32 v81, v81, v5                                 // 00000000A7F4: 0AA20B51
	v_mul_f32_e32 v82, v82, v6                                 // 00000000A7F8: 0AA40D52
	v_mul_f32_e32 v83, v83, v7                                 // 00000000A7FC: 0AA60F53
	v_mul_f32_e32 v80, v80, v160                               // 00000000A800: 0AA14150
	v_mul_f32_e32 v81, v81, v161                               // 00000000A804: 0AA34351
	v_mul_f32_e32 v82, v82, v162                               // 00000000A808: 0AA54552
	v_mul_f32_e32 v83, v83, v163                               // 00000000A80C: 0AA74753
	v_pk_mul_f32 v[4:5], v[84:85], v[84:85]                    // 00000000A810: D3B14004 1802A954
	v_pk_mul_f32 v[6:7], v[86:87], v[86:87]                    // 00000000A818: D3B14006 1802AD56
	v_pk_fma_f32 v[4:5], v[4:5], s[78:79], v[8:9]              // 00000000A820: D3B04004 1C209D04
	v_pk_fma_f32 v[6:7], v[6:7], s[78:79], v[8:9]              // 00000000A828: D3B04006 1C209D06
	v_pk_mul_f32 v[4:5], v[4:5], v[84:85]                      // 00000000A830: D3B14004 1802A904
	v_pk_mul_f32 v[6:7], v[6:7], v[86:87]                      // 00000000A838: D3B14006 1802AD06
	v_pk_mul_f32 v[4:5], v[4:5], s[60:61]                      // 00000000A840: D3B14004 18007904
	v_pk_mul_f32 v[6:7], v[6:7], s[60:61]                      // 00000000A848: D3B14006 18007906
	v_exp_f32_e32 v4, v4                                       // 00000000A850: 7E084104
	v_exp_f32_e32 v5, v5                                       // 00000000A854: 7E0A4105
	v_exp_f32_e32 v6, v6                                       // 00000000A858: 7E0C4106
	v_exp_f32_e32 v7, v7                                       // 00000000A85C: 7E0E4107
	v_add_f32_e64 v4, v4, 1.0                                  // 00000000A860: D1010004 0001E504
	v_add_f32_e64 v5, v5, 1.0                                  // 00000000A868: D1010005 0001E505
	v_add_f32_e64 v6, v6, 1.0                                  // 00000000A870: D1010006 0001E506
	v_add_f32_e64 v7, v7, 1.0                                  // 00000000A878: D1010007 0001E507
	v_rcp_f32_e32 v4, v4                                       // 00000000A880: 7E084504
	v_rcp_f32_e32 v5, v5                                       // 00000000A884: 7E0A4505
	v_rcp_f32_e32 v6, v6                                       // 00000000A888: 7E0C4506
	v_rcp_f32_e32 v7, v7                                       // 00000000A88C: 7E0E4507
	v_mul_f32_e32 v84, v84, v4                                 // 00000000A890: 0AA80954
	v_mul_f32_e32 v85, v85, v5                                 // 00000000A894: 0AAA0B55
	v_mul_f32_e32 v86, v86, v6                                 // 00000000A898: 0AAC0D56
	v_mul_f32_e32 v87, v87, v7                                 // 00000000A89C: 0AAE0F57
	v_mul_f32_e32 v84, v84, v164                               // 00000000A8A0: 0AA94954
	v_mul_f32_e32 v85, v85, v165                               // 00000000A8A4: 0AAB4B55
	v_mul_f32_e32 v86, v86, v166                               // 00000000A8A8: 0AAD4D56
	v_mul_f32_e32 v87, v87, v167                               // 00000000A8AC: 0AAF4F57
	v_pk_mul_f32 v[4:5], v[88:89], v[88:89]                    // 00000000A8B0: D3B14004 1802B158
	v_pk_mul_f32 v[6:7], v[90:91], v[90:91]                    // 00000000A8B8: D3B14006 1802B55A
	v_pk_fma_f32 v[4:5], v[4:5], s[78:79], v[8:9]              // 00000000A8C0: D3B04004 1C209D04
	v_pk_fma_f32 v[6:7], v[6:7], s[78:79], v[8:9]              // 00000000A8C8: D3B04006 1C209D06
	v_pk_mul_f32 v[4:5], v[4:5], v[88:89]                      // 00000000A8D0: D3B14004 1802B104
	v_pk_mul_f32 v[6:7], v[6:7], v[90:91]                      // 00000000A8D8: D3B14006 1802B506
	v_pk_mul_f32 v[4:5], v[4:5], s[60:61]                      // 00000000A8E0: D3B14004 18007904
	v_pk_mul_f32 v[6:7], v[6:7], s[60:61]                      // 00000000A8E8: D3B14006 18007906
	v_exp_f32_e32 v4, v4                                       // 00000000A8F0: 7E084104
	v_exp_f32_e32 v5, v5                                       // 00000000A8F4: 7E0A4105
	v_exp_f32_e32 v6, v6                                       // 00000000A8F8: 7E0C4106
	v_exp_f32_e32 v7, v7                                       // 00000000A8FC: 7E0E4107
	v_add_f32_e64 v4, v4, 1.0                                  // 00000000A900: D1010004 0001E504
	v_add_f32_e64 v5, v5, 1.0                                  // 00000000A908: D1010005 0001E505
	v_add_f32_e64 v6, v6, 1.0                                  // 00000000A910: D1010006 0001E506
	v_add_f32_e64 v7, v7, 1.0                                  // 00000000A918: D1010007 0001E507
	v_rcp_f32_e32 v4, v4                                       // 00000000A920: 7E084504
	v_rcp_f32_e32 v5, v5                                       // 00000000A924: 7E0A4505
	v_rcp_f32_e32 v6, v6                                       // 00000000A928: 7E0C4506
	v_rcp_f32_e32 v7, v7                                       // 00000000A92C: 7E0E4507
	v_mul_f32_e32 v88, v88, v4                                 // 00000000A930: 0AB00958
	v_mul_f32_e32 v89, v89, v5                                 // 00000000A934: 0AB20B59
	v_mul_f32_e32 v90, v90, v6                                 // 00000000A938: 0AB40D5A
	v_mul_f32_e32 v91, v91, v7                                 // 00000000A93C: 0AB60F5B
	v_mul_f32_e32 v88, v88, v168                               // 00000000A940: 0AB15158
	v_mul_f32_e32 v89, v89, v169                               // 00000000A944: 0AB35359
	v_mul_f32_e32 v90, v90, v170                               // 00000000A948: 0AB5555A
	v_mul_f32_e32 v91, v91, v171                               // 00000000A94C: 0AB7575B
	v_pk_mul_f32 v[4:5], v[92:93], v[92:93]                    // 00000000A950: D3B14004 1802B95C
	v_pk_mul_f32 v[6:7], v[94:95], v[94:95]                    // 00000000A958: D3B14006 1802BD5E
	v_pk_fma_f32 v[4:5], v[4:5], s[78:79], v[8:9]              // 00000000A960: D3B04004 1C209D04
	v_pk_fma_f32 v[6:7], v[6:7], s[78:79], v[8:9]              // 00000000A968: D3B04006 1C209D06
	v_pk_mul_f32 v[4:5], v[4:5], v[92:93]                      // 00000000A970: D3B14004 1802B904
	v_pk_mul_f32 v[6:7], v[6:7], v[94:95]                      // 00000000A978: D3B14006 1802BD06
	v_pk_mul_f32 v[4:5], v[4:5], s[60:61]                      // 00000000A980: D3B14004 18007904
	v_pk_mul_f32 v[6:7], v[6:7], s[60:61]                      // 00000000A988: D3B14006 18007906
	v_exp_f32_e32 v4, v4                                       // 00000000A990: 7E084104
	v_exp_f32_e32 v5, v5                                       // 00000000A994: 7E0A4105
	v_exp_f32_e32 v6, v6                                       // 00000000A998: 7E0C4106
	v_exp_f32_e32 v7, v7                                       // 00000000A99C: 7E0E4107
	v_add_f32_e64 v4, v4, 1.0                                  // 00000000A9A0: D1010004 0001E504
	v_add_f32_e64 v5, v5, 1.0                                  // 00000000A9A8: D1010005 0001E505
	v_add_f32_e64 v6, v6, 1.0                                  // 00000000A9B0: D1010006 0001E506
	v_add_f32_e64 v7, v7, 1.0                                  // 00000000A9B8: D1010007 0001E507
	v_rcp_f32_e32 v4, v4                                       // 00000000A9C0: 7E084504
	v_rcp_f32_e32 v5, v5                                       // 00000000A9C4: 7E0A4505
	v_rcp_f32_e32 v6, v6                                       // 00000000A9C8: 7E0C4506
	v_rcp_f32_e32 v7, v7                                       // 00000000A9CC: 7E0E4507
	v_mul_f32_e32 v92, v92, v4                                 // 00000000A9D0: 0AB8095C
	v_mul_f32_e32 v93, v93, v5                                 // 00000000A9D4: 0ABA0B5D
	v_mul_f32_e32 v94, v94, v6                                 // 00000000A9D8: 0ABC0D5E
	v_mul_f32_e32 v95, v95, v7                                 // 00000000A9DC: 0ABE0F5F
	v_mul_f32_e32 v92, v92, v172                               // 00000000A9E0: 0AB9595C
	v_mul_f32_e32 v93, v93, v173                               // 00000000A9E4: 0ABB5B5D
	v_mul_f32_e32 v94, v94, v174                               // 00000000A9E8: 0ABD5D5E
	v_mul_f32_e32 v95, v95, v175                               // 00000000A9EC: 0ABF5F5F
	v_pk_mul_f32 v[4:5], v[96:97], v[96:97]                    // 00000000A9F0: D3B14004 1802C160
	v_pk_mul_f32 v[6:7], v[98:99], v[98:99]                    // 00000000A9F8: D3B14006 1802C562
	v_pk_fma_f32 v[4:5], v[4:5], s[78:79], v[8:9]              // 00000000AA00: D3B04004 1C209D04
	v_pk_fma_f32 v[6:7], v[6:7], s[78:79], v[8:9]              // 00000000AA08: D3B04006 1C209D06
	v_pk_mul_f32 v[4:5], v[4:5], v[96:97]                      // 00000000AA10: D3B14004 1802C104
	v_pk_mul_f32 v[6:7], v[6:7], v[98:99]                      // 00000000AA18: D3B14006 1802C506
	v_pk_mul_f32 v[4:5], v[4:5], s[60:61]                      // 00000000AA20: D3B14004 18007904
	v_pk_mul_f32 v[6:7], v[6:7], s[60:61]                      // 00000000AA28: D3B14006 18007906
	v_exp_f32_e32 v4, v4                                       // 00000000AA30: 7E084104
	v_exp_f32_e32 v5, v5                                       // 00000000AA34: 7E0A4105
	v_exp_f32_e32 v6, v6                                       // 00000000AA38: 7E0C4106
	v_exp_f32_e32 v7, v7                                       // 00000000AA3C: 7E0E4107
	v_add_f32_e64 v4, v4, 1.0                                  // 00000000AA40: D1010004 0001E504
	v_add_f32_e64 v5, v5, 1.0                                  // 00000000AA48: D1010005 0001E505
	v_add_f32_e64 v6, v6, 1.0                                  // 00000000AA50: D1010006 0001E506
	v_add_f32_e64 v7, v7, 1.0                                  // 00000000AA58: D1010007 0001E507
	v_rcp_f32_e32 v4, v4                                       // 00000000AA60: 7E084504
	v_rcp_f32_e32 v5, v5                                       // 00000000AA64: 7E0A4505
	v_rcp_f32_e32 v6, v6                                       // 00000000AA68: 7E0C4506
	v_rcp_f32_e32 v7, v7                                       // 00000000AA6C: 7E0E4507
	v_mul_f32_e32 v96, v96, v4                                 // 00000000AA70: 0AC00960
	v_mul_f32_e32 v97, v97, v5                                 // 00000000AA74: 0AC20B61
	v_mul_f32_e32 v98, v98, v6                                 // 00000000AA78: 0AC40D62
	v_mul_f32_e32 v99, v99, v7                                 // 00000000AA7C: 0AC60F63
	v_mul_f32_e32 v96, v96, v176                               // 00000000AA80: 0AC16160
	v_mul_f32_e32 v97, v97, v177                               // 00000000AA84: 0AC36361
	v_mul_f32_e32 v98, v98, v178                               // 00000000AA88: 0AC56562
	v_mul_f32_e32 v99, v99, v179                               // 00000000AA8C: 0AC76763
	v_pk_mul_f32 v[4:5], v[100:101], v[100:101]                // 00000000AA90: D3B14004 1802C964
	v_pk_mul_f32 v[6:7], v[102:103], v[102:103]                // 00000000AA98: D3B14006 1802CD66
	v_pk_fma_f32 v[4:5], v[4:5], s[78:79], v[8:9]              // 00000000AAA0: D3B04004 1C209D04
	v_pk_fma_f32 v[6:7], v[6:7], s[78:79], v[8:9]              // 00000000AAA8: D3B04006 1C209D06
	v_pk_mul_f32 v[4:5], v[4:5], v[100:101]                    // 00000000AAB0: D3B14004 1802C904
	v_pk_mul_f32 v[6:7], v[6:7], v[102:103]                    // 00000000AAB8: D3B14006 1802CD06
	v_pk_mul_f32 v[4:5], v[4:5], s[60:61]                      // 00000000AAC0: D3B14004 18007904
	v_pk_mul_f32 v[6:7], v[6:7], s[60:61]                      // 00000000AAC8: D3B14006 18007906
	v_exp_f32_e32 v4, v4                                       // 00000000AAD0: 7E084104
	v_exp_f32_e32 v5, v5                                       // 00000000AAD4: 7E0A4105
	v_exp_f32_e32 v6, v6                                       // 00000000AAD8: 7E0C4106
	v_exp_f32_e32 v7, v7                                       // 00000000AADC: 7E0E4107
	v_add_f32_e64 v4, v4, 1.0                                  // 00000000AAE0: D1010004 0001E504
	v_add_f32_e64 v5, v5, 1.0                                  // 00000000AAE8: D1010005 0001E505
	v_add_f32_e64 v6, v6, 1.0                                  // 00000000AAF0: D1010006 0001E506
	v_add_f32_e64 v7, v7, 1.0                                  // 00000000AAF8: D1010007 0001E507
	v_rcp_f32_e32 v4, v4                                       // 00000000AB00: 7E084504
	v_rcp_f32_e32 v5, v5                                       // 00000000AB04: 7E0A4505
	v_rcp_f32_e32 v6, v6                                       // 00000000AB08: 7E0C4506
	v_rcp_f32_e32 v7, v7                                       // 00000000AB0C: 7E0E4507
	v_mul_f32_e32 v100, v100, v4                               // 00000000AB10: 0AC80964
	v_mul_f32_e32 v101, v101, v5                               // 00000000AB14: 0ACA0B65
	v_mul_f32_e32 v102, v102, v6                               // 00000000AB18: 0ACC0D66
	v_mul_f32_e32 v103, v103, v7                               // 00000000AB1C: 0ACE0F67
	v_mul_f32_e32 v100, v100, v180                             // 00000000AB20: 0AC96964
	v_mul_f32_e32 v101, v101, v181                             // 00000000AB24: 0ACB6B65
	v_mul_f32_e32 v102, v102, v182                             // 00000000AB28: 0ACD6D66
	v_mul_f32_e32 v103, v103, v183                             // 00000000AB2C: 0ACF6F67
	v_pk_mul_f32 v[4:5], v[104:105], v[104:105]                // 00000000AB30: D3B14004 1802D168
	v_pk_mul_f32 v[6:7], v[106:107], v[106:107]                // 00000000AB38: D3B14006 1802D56A
	v_pk_fma_f32 v[4:5], v[4:5], s[78:79], v[8:9]              // 00000000AB40: D3B04004 1C209D04
	v_pk_fma_f32 v[6:7], v[6:7], s[78:79], v[8:9]              // 00000000AB48: D3B04006 1C209D06
	v_pk_mul_f32 v[4:5], v[4:5], v[104:105]                    // 00000000AB50: D3B14004 1802D104
	v_pk_mul_f32 v[6:7], v[6:7], v[106:107]                    // 00000000AB58: D3B14006 1802D506
	v_pk_mul_f32 v[4:5], v[4:5], s[60:61]                      // 00000000AB60: D3B14004 18007904
	v_pk_mul_f32 v[6:7], v[6:7], s[60:61]                      // 00000000AB68: D3B14006 18007906
	v_exp_f32_e32 v4, v4                                       // 00000000AB70: 7E084104
	v_exp_f32_e32 v5, v5                                       // 00000000AB74: 7E0A4105
	v_exp_f32_e32 v6, v6                                       // 00000000AB78: 7E0C4106
	v_exp_f32_e32 v7, v7                                       // 00000000AB7C: 7E0E4107
	v_add_f32_e64 v4, v4, 1.0                                  // 00000000AB80: D1010004 0001E504
	v_add_f32_e64 v5, v5, 1.0                                  // 00000000AB88: D1010005 0001E505
	v_add_f32_e64 v6, v6, 1.0                                  // 00000000AB90: D1010006 0001E506
	v_add_f32_e64 v7, v7, 1.0                                  // 00000000AB98: D1010007 0001E507
	v_rcp_f32_e32 v4, v4                                       // 00000000ABA0: 7E084504
	v_rcp_f32_e32 v5, v5                                       // 00000000ABA4: 7E0A4505
	v_rcp_f32_e32 v6, v6                                       // 00000000ABA8: 7E0C4506
	v_rcp_f32_e32 v7, v7                                       // 00000000ABAC: 7E0E4507
	v_mul_f32_e32 v104, v104, v4                               // 00000000ABB0: 0AD00968
	v_mul_f32_e32 v105, v105, v5                               // 00000000ABB4: 0AD20B69
	v_mul_f32_e32 v106, v106, v6                               // 00000000ABB8: 0AD40D6A
	v_mul_f32_e32 v107, v107, v7                               // 00000000ABBC: 0AD60F6B
	v_mul_f32_e32 v104, v104, v184                             // 00000000ABC0: 0AD17168
	v_mul_f32_e32 v105, v105, v185                             // 00000000ABC4: 0AD37369
	v_mul_f32_e32 v106, v106, v186                             // 00000000ABC8: 0AD5756A
	v_mul_f32_e32 v107, v107, v187                             // 00000000ABCC: 0AD7776B
	v_pk_mul_f32 v[4:5], v[108:109], v[108:109]                // 00000000ABD0: D3B14004 1802D96C
	v_pk_mul_f32 v[6:7], v[110:111], v[110:111]                // 00000000ABD8: D3B14006 1802DD6E
	v_pk_fma_f32 v[4:5], v[4:5], s[78:79], v[8:9]              // 00000000ABE0: D3B04004 1C209D04
	v_pk_fma_f32 v[6:7], v[6:7], s[78:79], v[8:9]              // 00000000ABE8: D3B04006 1C209D06
	v_pk_mul_f32 v[4:5], v[4:5], v[108:109]                    // 00000000ABF0: D3B14004 1802D904
	v_pk_mul_f32 v[6:7], v[6:7], v[110:111]                    // 00000000ABF8: D3B14006 1802DD06
	v_pk_mul_f32 v[4:5], v[4:5], s[60:61]                      // 00000000AC00: D3B14004 18007904
	v_pk_mul_f32 v[6:7], v[6:7], s[60:61]                      // 00000000AC08: D3B14006 18007906
	v_exp_f32_e32 v4, v4                                       // 00000000AC10: 7E084104
	v_exp_f32_e32 v5, v5                                       // 00000000AC14: 7E0A4105
	v_exp_f32_e32 v6, v6                                       // 00000000AC18: 7E0C4106
	v_exp_f32_e32 v7, v7                                       // 00000000AC1C: 7E0E4107
	v_add_f32_e64 v4, v4, 1.0                                  // 00000000AC20: D1010004 0001E504
	v_add_f32_e64 v5, v5, 1.0                                  // 00000000AC28: D1010005 0001E505
	v_add_f32_e64 v6, v6, 1.0                                  // 00000000AC30: D1010006 0001E506
	v_add_f32_e64 v7, v7, 1.0                                  // 00000000AC38: D1010007 0001E507
	v_rcp_f32_e32 v4, v4                                       // 00000000AC40: 7E084504
	v_rcp_f32_e32 v5, v5                                       // 00000000AC44: 7E0A4505
	v_rcp_f32_e32 v6, v6                                       // 00000000AC48: 7E0C4506
	v_rcp_f32_e32 v7, v7                                       // 00000000AC4C: 7E0E4507
	v_mul_f32_e32 v108, v108, v4                               // 00000000AC50: 0AD8096C
	v_mul_f32_e32 v109, v109, v5                               // 00000000AC54: 0ADA0B6D
	v_mul_f32_e32 v110, v110, v6                               // 00000000AC58: 0ADC0D6E
	v_mul_f32_e32 v111, v111, v7                               // 00000000AC5C: 0ADE0F6F
	v_mul_f32_e32 v108, v108, v188                             // 00000000AC60: 0AD9796C
	v_mul_f32_e32 v109, v109, v189                             // 00000000AC64: 0ADB7B6D
	v_mul_f32_e32 v110, v110, v190                             // 00000000AC68: 0ADD7D6E
	v_mul_f32_e32 v111, v111, v191                             // 00000000AC6C: 0ADF7F6F
	v_pk_mul_f32 v[4:5], v[112:113], v[112:113]                // 00000000AC70: D3B14004 1802E170
	v_pk_mul_f32 v[6:7], v[114:115], v[114:115]                // 00000000AC78: D3B14006 1802E572
	v_pk_fma_f32 v[4:5], v[4:5], s[78:79], v[8:9]              // 00000000AC80: D3B04004 1C209D04
	v_pk_fma_f32 v[6:7], v[6:7], s[78:79], v[8:9]              // 00000000AC88: D3B04006 1C209D06
	v_pk_mul_f32 v[4:5], v[4:5], v[112:113]                    // 00000000AC90: D3B14004 1802E104
	v_pk_mul_f32 v[6:7], v[6:7], v[114:115]                    // 00000000AC98: D3B14006 1802E506
	v_pk_mul_f32 v[4:5], v[4:5], s[60:61]                      // 00000000ACA0: D3B14004 18007904
	v_pk_mul_f32 v[6:7], v[6:7], s[60:61]                      // 00000000ACA8: D3B14006 18007906
	v_exp_f32_e32 v4, v4                                       // 00000000ACB0: 7E084104
	v_exp_f32_e32 v5, v5                                       // 00000000ACB4: 7E0A4105
	v_exp_f32_e32 v6, v6                                       // 00000000ACB8: 7E0C4106
	v_exp_f32_e32 v7, v7                                       // 00000000ACBC: 7E0E4107
	v_add_f32_e64 v4, v4, 1.0                                  // 00000000ACC0: D1010004 0001E504
	v_add_f32_e64 v5, v5, 1.0                                  // 00000000ACC8: D1010005 0001E505
	v_add_f32_e64 v6, v6, 1.0                                  // 00000000ACD0: D1010006 0001E506
	v_add_f32_e64 v7, v7, 1.0                                  // 00000000ACD8: D1010007 0001E507
	v_rcp_f32_e32 v4, v4                                       // 00000000ACE0: 7E084504
	v_rcp_f32_e32 v5, v5                                       // 00000000ACE4: 7E0A4505
	v_rcp_f32_e32 v6, v6                                       // 00000000ACE8: 7E0C4506
	v_rcp_f32_e32 v7, v7                                       // 00000000ACEC: 7E0E4507
	v_mul_f32_e32 v112, v112, v4                               // 00000000ACF0: 0AE00970
	v_mul_f32_e32 v113, v113, v5                               // 00000000ACF4: 0AE20B71
	v_mul_f32_e32 v114, v114, v6                               // 00000000ACF8: 0AE40D72
	v_mul_f32_e32 v115, v115, v7                               // 00000000ACFC: 0AE60F73
	v_mul_f32_e32 v112, v112, v192                             // 00000000AD00: 0AE18170
	v_mul_f32_e32 v113, v113, v193                             // 00000000AD04: 0AE38371
	v_mul_f32_e32 v114, v114, v194                             // 00000000AD08: 0AE58572
	v_mul_f32_e32 v115, v115, v195                             // 00000000AD0C: 0AE78773
	v_pk_mul_f32 v[4:5], v[116:117], v[116:117]                // 00000000AD10: D3B14004 1802E974
	v_pk_mul_f32 v[6:7], v[118:119], v[118:119]                // 00000000AD18: D3B14006 1802ED76
	v_pk_fma_f32 v[4:5], v[4:5], s[78:79], v[8:9]              // 00000000AD20: D3B04004 1C209D04
	v_pk_fma_f32 v[6:7], v[6:7], s[78:79], v[8:9]              // 00000000AD28: D3B04006 1C209D06
	v_pk_mul_f32 v[4:5], v[4:5], v[116:117]                    // 00000000AD30: D3B14004 1802E904
	v_pk_mul_f32 v[6:7], v[6:7], v[118:119]                    // 00000000AD38: D3B14006 1802ED06
	v_pk_mul_f32 v[4:5], v[4:5], s[60:61]                      // 00000000AD40: D3B14004 18007904
	v_pk_mul_f32 v[6:7], v[6:7], s[60:61]                      // 00000000AD48: D3B14006 18007906
	v_exp_f32_e32 v4, v4                                       // 00000000AD50: 7E084104
	v_exp_f32_e32 v5, v5                                       // 00000000AD54: 7E0A4105
	v_exp_f32_e32 v6, v6                                       // 00000000AD58: 7E0C4106
	v_exp_f32_e32 v7, v7                                       // 00000000AD5C: 7E0E4107
	v_add_f32_e64 v4, v4, 1.0                                  // 00000000AD60: D1010004 0001E504
	v_add_f32_e64 v5, v5, 1.0                                  // 00000000AD68: D1010005 0001E505
	v_add_f32_e64 v6, v6, 1.0                                  // 00000000AD70: D1010006 0001E506
	v_add_f32_e64 v7, v7, 1.0                                  // 00000000AD78: D1010007 0001E507
	v_rcp_f32_e32 v4, v4                                       // 00000000AD80: 7E084504
	v_rcp_f32_e32 v5, v5                                       // 00000000AD84: 7E0A4505
	v_rcp_f32_e32 v6, v6                                       // 00000000AD88: 7E0C4506
	v_rcp_f32_e32 v7, v7                                       // 00000000AD8C: 7E0E4507
	v_mul_f32_e32 v116, v116, v4                               // 00000000AD90: 0AE80974
	v_mul_f32_e32 v117, v117, v5                               // 00000000AD94: 0AEA0B75
	v_mul_f32_e32 v118, v118, v6                               // 00000000AD98: 0AEC0D76
	v_mul_f32_e32 v119, v119, v7                               // 00000000AD9C: 0AEE0F77
	v_mul_f32_e32 v116, v116, v196                             // 00000000ADA0: 0AE98974
	v_mul_f32_e32 v117, v117, v197                             // 00000000ADA4: 0AEB8B75
	v_mul_f32_e32 v118, v118, v198                             // 00000000ADA8: 0AED8D76
	v_mul_f32_e32 v119, v119, v199                             // 00000000ADAC: 0AEF8F77
	v_pk_mul_f32 v[4:5], v[120:121], v[120:121]                // 00000000ADB0: D3B14004 1802F178
	v_pk_mul_f32 v[6:7], v[122:123], v[122:123]                // 00000000ADB8: D3B14006 1802F57A
	v_pk_fma_f32 v[4:5], v[4:5], s[78:79], v[8:9]              // 00000000ADC0: D3B04004 1C209D04
	v_pk_fma_f32 v[6:7], v[6:7], s[78:79], v[8:9]              // 00000000ADC8: D3B04006 1C209D06
	v_pk_mul_f32 v[4:5], v[4:5], v[120:121]                    // 00000000ADD0: D3B14004 1802F104
	v_pk_mul_f32 v[6:7], v[6:7], v[122:123]                    // 00000000ADD8: D3B14006 1802F506
	v_pk_mul_f32 v[4:5], v[4:5], s[60:61]                      // 00000000ADE0: D3B14004 18007904
	v_pk_mul_f32 v[6:7], v[6:7], s[60:61]                      // 00000000ADE8: D3B14006 18007906
	v_exp_f32_e32 v4, v4                                       // 00000000ADF0: 7E084104
	v_exp_f32_e32 v5, v5                                       // 00000000ADF4: 7E0A4105
	v_exp_f32_e32 v6, v6                                       // 00000000ADF8: 7E0C4106
	v_exp_f32_e32 v7, v7                                       // 00000000ADFC: 7E0E4107
	v_add_f32_e64 v4, v4, 1.0                                  // 00000000AE00: D1010004 0001E504
	v_add_f32_e64 v5, v5, 1.0                                  // 00000000AE08: D1010005 0001E505
	v_add_f32_e64 v6, v6, 1.0                                  // 00000000AE10: D1010006 0001E506
	v_add_f32_e64 v7, v7, 1.0                                  // 00000000AE18: D1010007 0001E507
	v_rcp_f32_e32 v4, v4                                       // 00000000AE20: 7E084504
	v_rcp_f32_e32 v5, v5                                       // 00000000AE24: 7E0A4505
	v_rcp_f32_e32 v6, v6                                       // 00000000AE28: 7E0C4506
	v_rcp_f32_e32 v7, v7                                       // 00000000AE2C: 7E0E4507
	v_mul_f32_e32 v120, v120, v4                               // 00000000AE30: 0AF00978
	v_mul_f32_e32 v121, v121, v5                               // 00000000AE34: 0AF20B79
	v_mul_f32_e32 v122, v122, v6                               // 00000000AE38: 0AF40D7A
	v_mul_f32_e32 v123, v123, v7                               // 00000000AE3C: 0AF60F7B
	v_mul_f32_e32 v120, v120, v200                             // 00000000AE40: 0AF19178
	v_mul_f32_e32 v121, v121, v201                             // 00000000AE44: 0AF39379
	v_mul_f32_e32 v122, v122, v202                             // 00000000AE48: 0AF5957A
	v_mul_f32_e32 v123, v123, v203                             // 00000000AE4C: 0AF7977B
	v_pk_mul_f32 v[4:5], v[124:125], v[124:125]                // 00000000AE50: D3B14004 1802F97C
	v_pk_mul_f32 v[6:7], v[126:127], v[126:127]                // 00000000AE58: D3B14006 1802FD7E
	v_pk_fma_f32 v[4:5], v[4:5], s[78:79], v[8:9]              // 00000000AE60: D3B04004 1C209D04
	v_pk_fma_f32 v[6:7], v[6:7], s[78:79], v[8:9]              // 00000000AE68: D3B04006 1C209D06
	v_pk_mul_f32 v[4:5], v[4:5], v[124:125]                    // 00000000AE70: D3B14004 1802F904
	v_pk_mul_f32 v[6:7], v[6:7], v[126:127]                    // 00000000AE78: D3B14006 1802FD06
	v_pk_mul_f32 v[4:5], v[4:5], s[60:61]                      // 00000000AE80: D3B14004 18007904
	v_pk_mul_f32 v[6:7], v[6:7], s[60:61]                      // 00000000AE88: D3B14006 18007906
	v_exp_f32_e32 v4, v4                                       // 00000000AE90: 7E084104
	v_exp_f32_e32 v5, v5                                       // 00000000AE94: 7E0A4105
	v_exp_f32_e32 v6, v6                                       // 00000000AE98: 7E0C4106
	v_exp_f32_e32 v7, v7                                       // 00000000AE9C: 7E0E4107
	v_add_f32_e64 v4, v4, 1.0                                  // 00000000AEA0: D1010004 0001E504
	v_add_f32_e64 v5, v5, 1.0                                  // 00000000AEA8: D1010005 0001E505
	v_add_f32_e64 v6, v6, 1.0                                  // 00000000AEB0: D1010006 0001E506
	v_add_f32_e64 v7, v7, 1.0                                  // 00000000AEB8: D1010007 0001E507
	v_rcp_f32_e32 v4, v4                                       // 00000000AEC0: 7E084504
	v_rcp_f32_e32 v5, v5                                       // 00000000AEC4: 7E0A4505
	v_rcp_f32_e32 v6, v6                                       // 00000000AEC8: 7E0C4506
	v_rcp_f32_e32 v7, v7                                       // 00000000AECC: 7E0E4507
	v_mul_f32_e32 v124, v124, v4                               // 00000000AED0: 0AF8097C
	v_mul_f32_e32 v125, v125, v5                               // 00000000AED4: 0AFA0B7D
	v_mul_f32_e32 v126, v126, v6                               // 00000000AED8: 0AFC0D7E
	v_mul_f32_e32 v127, v127, v7                               // 00000000AEDC: 0AFE0F7F
	v_mul_f32_e32 v124, v124, v204                             // 00000000AEE0: 0AF9997C
	v_mul_f32_e32 v125, v125, v205                             // 00000000AEE4: 0AFB9B7D
	v_mul_f32_e32 v126, v126, v206                             // 00000000AEE8: 0AFD9D7E
	v_mul_f32_e32 v127, v127, v207                             // 00000000AEEC: 0AFF9F7F
	v_pk_mul_f32 v[4:5], v[128:129], v[128:129]                // 00000000AEF0: D3B14004 18030180
	v_pk_mul_f32 v[6:7], v[130:131], v[130:131]                // 00000000AEF8: D3B14006 18030582
	v_pk_fma_f32 v[4:5], v[4:5], s[78:79], v[8:9]              // 00000000AF00: D3B04004 1C209D04
	v_pk_fma_f32 v[6:7], v[6:7], s[78:79], v[8:9]              // 00000000AF08: D3B04006 1C209D06
	v_pk_mul_f32 v[4:5], v[4:5], v[128:129]                    // 00000000AF10: D3B14004 18030104
	v_pk_mul_f32 v[6:7], v[6:7], v[130:131]                    // 00000000AF18: D3B14006 18030506
	v_pk_mul_f32 v[4:5], v[4:5], s[60:61]                      // 00000000AF20: D3B14004 18007904
	v_pk_mul_f32 v[6:7], v[6:7], s[60:61]                      // 00000000AF28: D3B14006 18007906
	v_exp_f32_e32 v4, v4                                       // 00000000AF30: 7E084104
	v_exp_f32_e32 v5, v5                                       // 00000000AF34: 7E0A4105
	v_exp_f32_e32 v6, v6                                       // 00000000AF38: 7E0C4106
	v_exp_f32_e32 v7, v7                                       // 00000000AF3C: 7E0E4107
	v_add_f32_e64 v4, v4, 1.0                                  // 00000000AF40: D1010004 0001E504
	v_add_f32_e64 v5, v5, 1.0                                  // 00000000AF48: D1010005 0001E505
	v_add_f32_e64 v6, v6, 1.0                                  // 00000000AF50: D1010006 0001E506
	v_add_f32_e64 v7, v7, 1.0                                  // 00000000AF58: D1010007 0001E507
	v_rcp_f32_e32 v4, v4                                       // 00000000AF60: 7E084504
	v_rcp_f32_e32 v5, v5                                       // 00000000AF64: 7E0A4505
	v_rcp_f32_e32 v6, v6                                       // 00000000AF68: 7E0C4506
	v_rcp_f32_e32 v7, v7                                       // 00000000AF6C: 7E0E4507
	v_mul_f32_e32 v128, v128, v4                               // 00000000AF70: 0B000980
	v_mul_f32_e32 v129, v129, v5                               // 00000000AF74: 0B020B81
	v_mul_f32_e32 v130, v130, v6                               // 00000000AF78: 0B040D82
	v_mul_f32_e32 v131, v131, v7                               // 00000000AF7C: 0B060F83
	v_mul_f32_e32 v128, v128, v208                             // 00000000AF80: 0B01A180
	v_mul_f32_e32 v129, v129, v209                             // 00000000AF84: 0B03A381
	v_mul_f32_e32 v130, v130, v210                             // 00000000AF88: 0B05A582
	v_mul_f32_e32 v131, v131, v211                             // 00000000AF8C: 0B07A783
	v_pk_mul_f32 v[4:5], v[132:133], v[132:133]                // 00000000AF90: D3B14004 18030984
	v_pk_mul_f32 v[6:7], v[134:135], v[134:135]                // 00000000AF98: D3B14006 18030D86
	v_pk_fma_f32 v[4:5], v[4:5], s[78:79], v[8:9]              // 00000000AFA0: D3B04004 1C209D04
	v_pk_fma_f32 v[6:7], v[6:7], s[78:79], v[8:9]              // 00000000AFA8: D3B04006 1C209D06
	v_pk_mul_f32 v[4:5], v[4:5], v[132:133]                    // 00000000AFB0: D3B14004 18030904
	v_pk_mul_f32 v[6:7], v[6:7], v[134:135]                    // 00000000AFB8: D3B14006 18030D06
	v_pk_mul_f32 v[4:5], v[4:5], s[60:61]                      // 00000000AFC0: D3B14004 18007904
	v_pk_mul_f32 v[6:7], v[6:7], s[60:61]                      // 00000000AFC8: D3B14006 18007906
	v_exp_f32_e32 v4, v4                                       // 00000000AFD0: 7E084104
	v_exp_f32_e32 v5, v5                                       // 00000000AFD4: 7E0A4105
	v_exp_f32_e32 v6, v6                                       // 00000000AFD8: 7E0C4106
	v_exp_f32_e32 v7, v7                                       // 00000000AFDC: 7E0E4107
	v_add_f32_e64 v4, v4, 1.0                                  // 00000000AFE0: D1010004 0001E504
	v_add_f32_e64 v5, v5, 1.0                                  // 00000000AFE8: D1010005 0001E505
	v_add_f32_e64 v6, v6, 1.0                                  // 00000000AFF0: D1010006 0001E506
	v_add_f32_e64 v7, v7, 1.0                                  // 00000000AFF8: D1010007 0001E507
	v_rcp_f32_e32 v4, v4                                       // 00000000B000: 7E084504
	v_rcp_f32_e32 v5, v5                                       // 00000000B004: 7E0A4505
	v_rcp_f32_e32 v6, v6                                       // 00000000B008: 7E0C4506
	v_rcp_f32_e32 v7, v7                                       // 00000000B00C: 7E0E4507
	v_mul_f32_e32 v132, v132, v4                               // 00000000B010: 0B080984
	v_mul_f32_e32 v133, v133, v5                               // 00000000B014: 0B0A0B85
	v_mul_f32_e32 v134, v134, v6                               // 00000000B018: 0B0C0D86
	v_mul_f32_e32 v135, v135, v7                               // 00000000B01C: 0B0E0F87
	v_mul_f32_e32 v132, v132, v212                             // 00000000B020: 0B09A984
	v_mul_f32_e32 v133, v133, v213                             // 00000000B024: 0B0BAB85
	v_mul_f32_e32 v134, v134, v214                             // 00000000B028: 0B0DAD86
	v_mul_f32_e32 v135, v135, v215                             // 00000000B02C: 0B0FAF87
	v_pk_mul_f32 v[4:5], v[136:137], v[136:137]                // 00000000B030: D3B14004 18031188
	v_pk_mul_f32 v[6:7], v[138:139], v[138:139]                // 00000000B038: D3B14006 1803158A
	v_pk_fma_f32 v[4:5], v[4:5], s[78:79], v[8:9]              // 00000000B040: D3B04004 1C209D04
	v_pk_fma_f32 v[6:7], v[6:7], s[78:79], v[8:9]              // 00000000B048: D3B04006 1C209D06
	v_pk_mul_f32 v[4:5], v[4:5], v[136:137]                    // 00000000B050: D3B14004 18031104
	v_pk_mul_f32 v[6:7], v[6:7], v[138:139]                    // 00000000B058: D3B14006 18031506
	v_pk_mul_f32 v[4:5], v[4:5], s[60:61]                      // 00000000B060: D3B14004 18007904
	v_pk_mul_f32 v[6:7], v[6:7], s[60:61]                      // 00000000B068: D3B14006 18007906
	v_exp_f32_e32 v4, v4                                       // 00000000B070: 7E084104
	v_exp_f32_e32 v5, v5                                       // 00000000B074: 7E0A4105
	v_exp_f32_e32 v6, v6                                       // 00000000B078: 7E0C4106
	v_exp_f32_e32 v7, v7                                       // 00000000B07C: 7E0E4107
	v_add_f32_e64 v4, v4, 1.0                                  // 00000000B080: D1010004 0001E504
	v_add_f32_e64 v5, v5, 1.0                                  // 00000000B088: D1010005 0001E505
	v_add_f32_e64 v6, v6, 1.0                                  // 00000000B090: D1010006 0001E506
	v_add_f32_e64 v7, v7, 1.0                                  // 00000000B098: D1010007 0001E507
	v_rcp_f32_e32 v4, v4                                       // 00000000B0A0: 7E084504
	v_rcp_f32_e32 v5, v5                                       // 00000000B0A4: 7E0A4505
	v_rcp_f32_e32 v6, v6                                       // 00000000B0A8: 7E0C4506
	v_rcp_f32_e32 v7, v7                                       // 00000000B0AC: 7E0E4507
	v_mul_f32_e32 v136, v136, v4                               // 00000000B0B0: 0B100988
	v_mul_f32_e32 v137, v137, v5                               // 00000000B0B4: 0B120B89
	v_mul_f32_e32 v138, v138, v6                               // 00000000B0B8: 0B140D8A
	v_mul_f32_e32 v139, v139, v7                               // 00000000B0BC: 0B160F8B
	v_mul_f32_e32 v136, v136, v216                             // 00000000B0C0: 0B11B188
	v_mul_f32_e32 v137, v137, v217                             // 00000000B0C4: 0B13B389
	v_mul_f32_e32 v138, v138, v218                             // 00000000B0C8: 0B15B58A
	v_mul_f32_e32 v139, v139, v219                             // 00000000B0CC: 0B17B78B
	v_pk_mul_f32 v[4:5], v[140:141], v[140:141]                // 00000000B0D0: D3B14004 1803198C
	v_pk_mul_f32 v[6:7], v[142:143], v[142:143]                // 00000000B0D8: D3B14006 18031D8E
	v_pk_fma_f32 v[4:5], v[4:5], s[78:79], v[8:9]              // 00000000B0E0: D3B04004 1C209D04
	v_pk_fma_f32 v[6:7], v[6:7], s[78:79], v[8:9]              // 00000000B0E8: D3B04006 1C209D06
	v_pk_mul_f32 v[4:5], v[4:5], v[140:141]                    // 00000000B0F0: D3B14004 18031904
	v_pk_mul_f32 v[6:7], v[6:7], v[142:143]                    // 00000000B0F8: D3B14006 18031D06
	v_pk_mul_f32 v[4:5], v[4:5], s[60:61]                      // 00000000B100: D3B14004 18007904
	v_pk_mul_f32 v[6:7], v[6:7], s[60:61]                      // 00000000B108: D3B14006 18007906
	v_exp_f32_e32 v4, v4                                       // 00000000B110: 7E084104
	v_exp_f32_e32 v5, v5                                       // 00000000B114: 7E0A4105
	v_exp_f32_e32 v6, v6                                       // 00000000B118: 7E0C4106
	v_exp_f32_e32 v7, v7                                       // 00000000B11C: 7E0E4107
	v_add_f32_e64 v4, v4, 1.0                                  // 00000000B120: D1010004 0001E504
	v_add_f32_e64 v5, v5, 1.0                                  // 00000000B128: D1010005 0001E505
	v_add_f32_e64 v6, v6, 1.0                                  // 00000000B130: D1010006 0001E506
	v_add_f32_e64 v7, v7, 1.0                                  // 00000000B138: D1010007 0001E507
	v_rcp_f32_e32 v4, v4                                       // 00000000B140: 7E084504
	v_rcp_f32_e32 v5, v5                                       // 00000000B144: 7E0A4505
	v_rcp_f32_e32 v6, v6                                       // 00000000B148: 7E0C4506
	v_rcp_f32_e32 v7, v7                                       // 00000000B14C: 7E0E4507
	v_mul_f32_e32 v140, v140, v4                               // 00000000B150: 0B18098C
	v_mul_f32_e32 v141, v141, v5                               // 00000000B154: 0B1A0B8D
	v_mul_f32_e32 v142, v142, v6                               // 00000000B158: 0B1C0D8E
	v_mul_f32_e32 v143, v143, v7                               // 00000000B15C: 0B1E0F8F
	v_mul_f32_e32 v140, v140, v220                             // 00000000B160: 0B19B98C
	v_mul_f32_e32 v141, v141, v221                             // 00000000B164: 0B1BBB8D
	v_mul_f32_e32 v142, v142, v222                             // 00000000B168: 0B1DBD8E
	v_mul_f32_e32 v143, v143, v223                             // 00000000B16C: 0B1FBF8F
	s_branch label_2460                                        // 00000000B170: BF820280

000000000000b174 <label_21E0>:
	v_mul_f32_e64 v4, -v64, s6                                 // 00000000B174: D1050004 20000D40
	v_mul_f32_e64 v5, -v65, s6                                 // 00000000B17C: D1050005 20000D41
	v_mul_f32_e64 v6, -v66, s6                                 // 00000000B184: D1050006 20000D42
	v_mul_f32_e64 v7, -v67, s6                                 // 00000000B18C: D1050007 20000D43
	v_exp_f32_e32 v4, v4                                       // 00000000B194: 7E084104
	v_exp_f32_e32 v5, v5                                       // 00000000B198: 7E0A4105
	v_exp_f32_e32 v6, v6                                       // 00000000B19C: 7E0C4106
	v_exp_f32_e32 v7, v7                                       // 00000000B1A0: 7E0E4107
	v_add_f32_e64 v4, v4, 1.0                                  // 00000000B1A4: D1010004 0001E504
	v_add_f32_e64 v5, v5, 1.0                                  // 00000000B1AC: D1010005 0001E505
	v_add_f32_e64 v6, v6, 1.0                                  // 00000000B1B4: D1010006 0001E506
	v_add_f32_e64 v7, v7, 1.0                                  // 00000000B1BC: D1010007 0001E507
	v_rcp_f32_e32 v4, v4                                       // 00000000B1C4: 7E084504
	v_rcp_f32_e32 v5, v5                                       // 00000000B1C8: 7E0A4505
	v_rcp_f32_e32 v6, v6                                       // 00000000B1CC: 7E0C4506
	v_rcp_f32_e32 v7, v7                                       // 00000000B1D0: 7E0E4507
	v_mul_f32_e32 v64, v64, v4                                 // 00000000B1D4: 0A800940
	v_mul_f32_e32 v65, v65, v5                                 // 00000000B1D8: 0A820B41
	v_mul_f32_e32 v66, v66, v6                                 // 00000000B1DC: 0A840D42
	v_mul_f32_e32 v67, v67, v7                                 // 00000000B1E0: 0A860F43
	v_mul_f32_e32 v64, v64, v144                               // 00000000B1E4: 0A812140
	v_mul_f32_e32 v65, v65, v145                               // 00000000B1E8: 0A832341
	v_mul_f32_e32 v66, v66, v146                               // 00000000B1EC: 0A852542
	v_mul_f32_e32 v67, v67, v147                               // 00000000B1F0: 0A872743
	v_mul_f32_e64 v4, -v68, s6                                 // 00000000B1F4: D1050004 20000D44
	v_mul_f32_e64 v5, -v69, s6                                 // 00000000B1FC: D1050005 20000D45
	v_mul_f32_e64 v6, -v70, s6                                 // 00000000B204: D1050006 20000D46
	v_mul_f32_e64 v7, -v71, s6                                 // 00000000B20C: D1050007 20000D47
	v_exp_f32_e32 v4, v4                                       // 00000000B214: 7E084104
	v_exp_f32_e32 v5, v5                                       // 00000000B218: 7E0A4105
	v_exp_f32_e32 v6, v6                                       // 00000000B21C: 7E0C4106
	v_exp_f32_e32 v7, v7                                       // 00000000B220: 7E0E4107
	v_add_f32_e64 v4, v4, 1.0                                  // 00000000B224: D1010004 0001E504
	v_add_f32_e64 v5, v5, 1.0                                  // 00000000B22C: D1010005 0001E505
	v_add_f32_e64 v6, v6, 1.0                                  // 00000000B234: D1010006 0001E506
	v_add_f32_e64 v7, v7, 1.0                                  // 00000000B23C: D1010007 0001E507
	v_rcp_f32_e32 v4, v4                                       // 00000000B244: 7E084504
	v_rcp_f32_e32 v5, v5                                       // 00000000B248: 7E0A4505
	v_rcp_f32_e32 v6, v6                                       // 00000000B24C: 7E0C4506
	v_rcp_f32_e32 v7, v7                                       // 00000000B250: 7E0E4507
	v_mul_f32_e32 v68, v68, v4                                 // 00000000B254: 0A880944
	v_mul_f32_e32 v69, v69, v5                                 // 00000000B258: 0A8A0B45
	v_mul_f32_e32 v70, v70, v6                                 // 00000000B25C: 0A8C0D46
	v_mul_f32_e32 v71, v71, v7                                 // 00000000B260: 0A8E0F47
	v_mul_f32_e32 v68, v68, v148                               // 00000000B264: 0A892944
	v_mul_f32_e32 v69, v69, v149                               // 00000000B268: 0A8B2B45
	v_mul_f32_e32 v70, v70, v150                               // 00000000B26C: 0A8D2D46
	v_mul_f32_e32 v71, v71, v151                               // 00000000B270: 0A8F2F47
	v_mul_f32_e64 v4, -v72, s6                                 // 00000000B274: D1050004 20000D48
	v_mul_f32_e64 v5, -v73, s6                                 // 00000000B27C: D1050005 20000D49
	v_mul_f32_e64 v6, -v74, s6                                 // 00000000B284: D1050006 20000D4A
	v_mul_f32_e64 v7, -v75, s6                                 // 00000000B28C: D1050007 20000D4B
	v_exp_f32_e32 v4, v4                                       // 00000000B294: 7E084104
	v_exp_f32_e32 v5, v5                                       // 00000000B298: 7E0A4105
	v_exp_f32_e32 v6, v6                                       // 00000000B29C: 7E0C4106
	v_exp_f32_e32 v7, v7                                       // 00000000B2A0: 7E0E4107
	v_add_f32_e64 v4, v4, 1.0                                  // 00000000B2A4: D1010004 0001E504
	v_add_f32_e64 v5, v5, 1.0                                  // 00000000B2AC: D1010005 0001E505
	v_add_f32_e64 v6, v6, 1.0                                  // 00000000B2B4: D1010006 0001E506
	v_add_f32_e64 v7, v7, 1.0                                  // 00000000B2BC: D1010007 0001E507
	v_rcp_f32_e32 v4, v4                                       // 00000000B2C4: 7E084504
	v_rcp_f32_e32 v5, v5                                       // 00000000B2C8: 7E0A4505
	v_rcp_f32_e32 v6, v6                                       // 00000000B2CC: 7E0C4506
	v_rcp_f32_e32 v7, v7                                       // 00000000B2D0: 7E0E4507
	v_mul_f32_e32 v72, v72, v4                                 // 00000000B2D4: 0A900948
	v_mul_f32_e32 v73, v73, v5                                 // 00000000B2D8: 0A920B49
	v_mul_f32_e32 v74, v74, v6                                 // 00000000B2DC: 0A940D4A
	v_mul_f32_e32 v75, v75, v7                                 // 00000000B2E0: 0A960F4B
	v_mul_f32_e32 v72, v72, v152                               // 00000000B2E4: 0A913148
	v_mul_f32_e32 v73, v73, v153                               // 00000000B2E8: 0A933349
	v_mul_f32_e32 v74, v74, v154                               // 00000000B2EC: 0A95354A
	v_mul_f32_e32 v75, v75, v155                               // 00000000B2F0: 0A97374B
	v_mul_f32_e64 v4, -v76, s6                                 // 00000000B2F4: D1050004 20000D4C
	v_mul_f32_e64 v5, -v77, s6                                 // 00000000B2FC: D1050005 20000D4D
	v_mul_f32_e64 v6, -v78, s6                                 // 00000000B304: D1050006 20000D4E
	v_mul_f32_e64 v7, -v79, s6                                 // 00000000B30C: D1050007 20000D4F
	v_exp_f32_e32 v4, v4                                       // 00000000B314: 7E084104
	v_exp_f32_e32 v5, v5                                       // 00000000B318: 7E0A4105
	v_exp_f32_e32 v6, v6                                       // 00000000B31C: 7E0C4106
	v_exp_f32_e32 v7, v7                                       // 00000000B320: 7E0E4107
	v_add_f32_e64 v4, v4, 1.0                                  // 00000000B324: D1010004 0001E504
	v_add_f32_e64 v5, v5, 1.0                                  // 00000000B32C: D1010005 0001E505
	v_add_f32_e64 v6, v6, 1.0                                  // 00000000B334: D1010006 0001E506
	v_add_f32_e64 v7, v7, 1.0                                  // 00000000B33C: D1010007 0001E507
	v_rcp_f32_e32 v4, v4                                       // 00000000B344: 7E084504
	v_rcp_f32_e32 v5, v5                                       // 00000000B348: 7E0A4505
	v_rcp_f32_e32 v6, v6                                       // 00000000B34C: 7E0C4506
	v_rcp_f32_e32 v7, v7                                       // 00000000B350: 7E0E4507
	v_mul_f32_e32 v76, v76, v4                                 // 00000000B354: 0A98094C
	v_mul_f32_e32 v77, v77, v5                                 // 00000000B358: 0A9A0B4D
	v_mul_f32_e32 v78, v78, v6                                 // 00000000B35C: 0A9C0D4E
	v_mul_f32_e32 v79, v79, v7                                 // 00000000B360: 0A9E0F4F
	v_mul_f32_e32 v76, v76, v156                               // 00000000B364: 0A99394C
	v_mul_f32_e32 v77, v77, v157                               // 00000000B368: 0A9B3B4D
	v_mul_f32_e32 v78, v78, v158                               // 00000000B36C: 0A9D3D4E
	v_mul_f32_e32 v79, v79, v159                               // 00000000B370: 0A9F3F4F
	v_mul_f32_e64 v4, -v80, s6                                 // 00000000B374: D1050004 20000D50
	v_mul_f32_e64 v5, -v81, s6                                 // 00000000B37C: D1050005 20000D51
	v_mul_f32_e64 v6, -v82, s6                                 // 00000000B384: D1050006 20000D52
	v_mul_f32_e64 v7, -v83, s6                                 // 00000000B38C: D1050007 20000D53
	v_exp_f32_e32 v4, v4                                       // 00000000B394: 7E084104
	v_exp_f32_e32 v5, v5                                       // 00000000B398: 7E0A4105
	v_exp_f32_e32 v6, v6                                       // 00000000B39C: 7E0C4106
	v_exp_f32_e32 v7, v7                                       // 00000000B3A0: 7E0E4107
	v_add_f32_e64 v4, v4, 1.0                                  // 00000000B3A4: D1010004 0001E504
	v_add_f32_e64 v5, v5, 1.0                                  // 00000000B3AC: D1010005 0001E505
	v_add_f32_e64 v6, v6, 1.0                                  // 00000000B3B4: D1010006 0001E506
	v_add_f32_e64 v7, v7, 1.0                                  // 00000000B3BC: D1010007 0001E507
	v_rcp_f32_e32 v4, v4                                       // 00000000B3C4: 7E084504
	v_rcp_f32_e32 v5, v5                                       // 00000000B3C8: 7E0A4505
	v_rcp_f32_e32 v6, v6                                       // 00000000B3CC: 7E0C4506
	v_rcp_f32_e32 v7, v7                                       // 00000000B3D0: 7E0E4507
	v_mul_f32_e32 v80, v80, v4                                 // 00000000B3D4: 0AA00950
	v_mul_f32_e32 v81, v81, v5                                 // 00000000B3D8: 0AA20B51
	v_mul_f32_e32 v82, v82, v6                                 // 00000000B3DC: 0AA40D52
	v_mul_f32_e32 v83, v83, v7                                 // 00000000B3E0: 0AA60F53
	v_mul_f32_e32 v80, v80, v160                               // 00000000B3E4: 0AA14150
	v_mul_f32_e32 v81, v81, v161                               // 00000000B3E8: 0AA34351
	v_mul_f32_e32 v82, v82, v162                               // 00000000B3EC: 0AA54552
	v_mul_f32_e32 v83, v83, v163                               // 00000000B3F0: 0AA74753
	v_mul_f32_e64 v4, -v84, s6                                 // 00000000B3F4: D1050004 20000D54
	v_mul_f32_e64 v5, -v85, s6                                 // 00000000B3FC: D1050005 20000D55
	v_mul_f32_e64 v6, -v86, s6                                 // 00000000B404: D1050006 20000D56
	v_mul_f32_e64 v7, -v87, s6                                 // 00000000B40C: D1050007 20000D57
	v_exp_f32_e32 v4, v4                                       // 00000000B414: 7E084104
	v_exp_f32_e32 v5, v5                                       // 00000000B418: 7E0A4105
	v_exp_f32_e32 v6, v6                                       // 00000000B41C: 7E0C4106
	v_exp_f32_e32 v7, v7                                       // 00000000B420: 7E0E4107
	v_add_f32_e64 v4, v4, 1.0                                  // 00000000B424: D1010004 0001E504
	v_add_f32_e64 v5, v5, 1.0                                  // 00000000B42C: D1010005 0001E505
	v_add_f32_e64 v6, v6, 1.0                                  // 00000000B434: D1010006 0001E506
	v_add_f32_e64 v7, v7, 1.0                                  // 00000000B43C: D1010007 0001E507
	v_rcp_f32_e32 v4, v4                                       // 00000000B444: 7E084504
	v_rcp_f32_e32 v5, v5                                       // 00000000B448: 7E0A4505
	v_rcp_f32_e32 v6, v6                                       // 00000000B44C: 7E0C4506
	v_rcp_f32_e32 v7, v7                                       // 00000000B450: 7E0E4507
	v_mul_f32_e32 v84, v84, v4                                 // 00000000B454: 0AA80954
	v_mul_f32_e32 v85, v85, v5                                 // 00000000B458: 0AAA0B55
	v_mul_f32_e32 v86, v86, v6                                 // 00000000B45C: 0AAC0D56
	v_mul_f32_e32 v87, v87, v7                                 // 00000000B460: 0AAE0F57
	v_mul_f32_e32 v84, v84, v164                               // 00000000B464: 0AA94954
	v_mul_f32_e32 v85, v85, v165                               // 00000000B468: 0AAB4B55
	v_mul_f32_e32 v86, v86, v166                               // 00000000B46C: 0AAD4D56
	v_mul_f32_e32 v87, v87, v167                               // 00000000B470: 0AAF4F57
	v_mul_f32_e64 v4, -v88, s6                                 // 00000000B474: D1050004 20000D58
	v_mul_f32_e64 v5, -v89, s6                                 // 00000000B47C: D1050005 20000D59
	v_mul_f32_e64 v6, -v90, s6                                 // 00000000B484: D1050006 20000D5A
	v_mul_f32_e64 v7, -v91, s6                                 // 00000000B48C: D1050007 20000D5B
	v_exp_f32_e32 v4, v4                                       // 00000000B494: 7E084104
	v_exp_f32_e32 v5, v5                                       // 00000000B498: 7E0A4105
	v_exp_f32_e32 v6, v6                                       // 00000000B49C: 7E0C4106
	v_exp_f32_e32 v7, v7                                       // 00000000B4A0: 7E0E4107
	v_add_f32_e64 v4, v4, 1.0                                  // 00000000B4A4: D1010004 0001E504
	v_add_f32_e64 v5, v5, 1.0                                  // 00000000B4AC: D1010005 0001E505
	v_add_f32_e64 v6, v6, 1.0                                  // 00000000B4B4: D1010006 0001E506
	v_add_f32_e64 v7, v7, 1.0                                  // 00000000B4BC: D1010007 0001E507
	v_rcp_f32_e32 v4, v4                                       // 00000000B4C4: 7E084504
	v_rcp_f32_e32 v5, v5                                       // 00000000B4C8: 7E0A4505
	v_rcp_f32_e32 v6, v6                                       // 00000000B4CC: 7E0C4506
	v_rcp_f32_e32 v7, v7                                       // 00000000B4D0: 7E0E4507
	v_mul_f32_e32 v88, v88, v4                                 // 00000000B4D4: 0AB00958
	v_mul_f32_e32 v89, v89, v5                                 // 00000000B4D8: 0AB20B59
	v_mul_f32_e32 v90, v90, v6                                 // 00000000B4DC: 0AB40D5A
	v_mul_f32_e32 v91, v91, v7                                 // 00000000B4E0: 0AB60F5B
	v_mul_f32_e32 v88, v88, v168                               // 00000000B4E4: 0AB15158
	v_mul_f32_e32 v89, v89, v169                               // 00000000B4E8: 0AB35359
	v_mul_f32_e32 v90, v90, v170                               // 00000000B4EC: 0AB5555A
	v_mul_f32_e32 v91, v91, v171                               // 00000000B4F0: 0AB7575B
	v_mul_f32_e64 v4, -v92, s6                                 // 00000000B4F4: D1050004 20000D5C
	v_mul_f32_e64 v5, -v93, s6                                 // 00000000B4FC: D1050005 20000D5D
	v_mul_f32_e64 v6, -v94, s6                                 // 00000000B504: D1050006 20000D5E
	v_mul_f32_e64 v7, -v95, s6                                 // 00000000B50C: D1050007 20000D5F
	v_exp_f32_e32 v4, v4                                       // 00000000B514: 7E084104
	v_exp_f32_e32 v5, v5                                       // 00000000B518: 7E0A4105
	v_exp_f32_e32 v6, v6                                       // 00000000B51C: 7E0C4106
	v_exp_f32_e32 v7, v7                                       // 00000000B520: 7E0E4107
	v_add_f32_e64 v4, v4, 1.0                                  // 00000000B524: D1010004 0001E504
	v_add_f32_e64 v5, v5, 1.0                                  // 00000000B52C: D1010005 0001E505
	v_add_f32_e64 v6, v6, 1.0                                  // 00000000B534: D1010006 0001E506
	v_add_f32_e64 v7, v7, 1.0                                  // 00000000B53C: D1010007 0001E507
	v_rcp_f32_e32 v4, v4                                       // 00000000B544: 7E084504
	v_rcp_f32_e32 v5, v5                                       // 00000000B548: 7E0A4505
	v_rcp_f32_e32 v6, v6                                       // 00000000B54C: 7E0C4506
	v_rcp_f32_e32 v7, v7                                       // 00000000B550: 7E0E4507
	v_mul_f32_e32 v92, v92, v4                                 // 00000000B554: 0AB8095C
	v_mul_f32_e32 v93, v93, v5                                 // 00000000B558: 0ABA0B5D
	v_mul_f32_e32 v94, v94, v6                                 // 00000000B55C: 0ABC0D5E
	v_mul_f32_e32 v95, v95, v7                                 // 00000000B560: 0ABE0F5F
	v_mul_f32_e32 v92, v92, v172                               // 00000000B564: 0AB9595C
	v_mul_f32_e32 v93, v93, v173                               // 00000000B568: 0ABB5B5D
	v_mul_f32_e32 v94, v94, v174                               // 00000000B56C: 0ABD5D5E
	v_mul_f32_e32 v95, v95, v175                               // 00000000B570: 0ABF5F5F
	v_mul_f32_e64 v4, -v96, s6                                 // 00000000B574: D1050004 20000D60
	v_mul_f32_e64 v5, -v97, s6                                 // 00000000B57C: D1050005 20000D61
	v_mul_f32_e64 v6, -v98, s6                                 // 00000000B584: D1050006 20000D62
	v_mul_f32_e64 v7, -v99, s6                                 // 00000000B58C: D1050007 20000D63
	v_exp_f32_e32 v4, v4                                       // 00000000B594: 7E084104
	v_exp_f32_e32 v5, v5                                       // 00000000B598: 7E0A4105
	v_exp_f32_e32 v6, v6                                       // 00000000B59C: 7E0C4106
	v_exp_f32_e32 v7, v7                                       // 00000000B5A0: 7E0E4107
	v_add_f32_e64 v4, v4, 1.0                                  // 00000000B5A4: D1010004 0001E504
	v_add_f32_e64 v5, v5, 1.0                                  // 00000000B5AC: D1010005 0001E505
	v_add_f32_e64 v6, v6, 1.0                                  // 00000000B5B4: D1010006 0001E506
	v_add_f32_e64 v7, v7, 1.0                                  // 00000000B5BC: D1010007 0001E507
	v_rcp_f32_e32 v4, v4                                       // 00000000B5C4: 7E084504
	v_rcp_f32_e32 v5, v5                                       // 00000000B5C8: 7E0A4505
	v_rcp_f32_e32 v6, v6                                       // 00000000B5CC: 7E0C4506
	v_rcp_f32_e32 v7, v7                                       // 00000000B5D0: 7E0E4507
	v_mul_f32_e32 v96, v96, v4                                 // 00000000B5D4: 0AC00960
	v_mul_f32_e32 v97, v97, v5                                 // 00000000B5D8: 0AC20B61
	v_mul_f32_e32 v98, v98, v6                                 // 00000000B5DC: 0AC40D62
	v_mul_f32_e32 v99, v99, v7                                 // 00000000B5E0: 0AC60F63
	v_mul_f32_e32 v96, v96, v176                               // 00000000B5E4: 0AC16160
	v_mul_f32_e32 v97, v97, v177                               // 00000000B5E8: 0AC36361
	v_mul_f32_e32 v98, v98, v178                               // 00000000B5EC: 0AC56562
	v_mul_f32_e32 v99, v99, v179                               // 00000000B5F0: 0AC76763
	v_mul_f32_e64 v4, -v100, s6                                // 00000000B5F4: D1050004 20000D64
	v_mul_f32_e64 v5, -v101, s6                                // 00000000B5FC: D1050005 20000D65
	v_mul_f32_e64 v6, -v102, s6                                // 00000000B604: D1050006 20000D66
	v_mul_f32_e64 v7, -v103, s6                                // 00000000B60C: D1050007 20000D67
	v_exp_f32_e32 v4, v4                                       // 00000000B614: 7E084104
	v_exp_f32_e32 v5, v5                                       // 00000000B618: 7E0A4105
	v_exp_f32_e32 v6, v6                                       // 00000000B61C: 7E0C4106
	v_exp_f32_e32 v7, v7                                       // 00000000B620: 7E0E4107
	v_add_f32_e64 v4, v4, 1.0                                  // 00000000B624: D1010004 0001E504
	v_add_f32_e64 v5, v5, 1.0                                  // 00000000B62C: D1010005 0001E505
	v_add_f32_e64 v6, v6, 1.0                                  // 00000000B634: D1010006 0001E506
	v_add_f32_e64 v7, v7, 1.0                                  // 00000000B63C: D1010007 0001E507
	v_rcp_f32_e32 v4, v4                                       // 00000000B644: 7E084504
	v_rcp_f32_e32 v5, v5                                       // 00000000B648: 7E0A4505
	v_rcp_f32_e32 v6, v6                                       // 00000000B64C: 7E0C4506
	v_rcp_f32_e32 v7, v7                                       // 00000000B650: 7E0E4507
	v_mul_f32_e32 v100, v100, v4                               // 00000000B654: 0AC80964
	v_mul_f32_e32 v101, v101, v5                               // 00000000B658: 0ACA0B65
	v_mul_f32_e32 v102, v102, v6                               // 00000000B65C: 0ACC0D66
	v_mul_f32_e32 v103, v103, v7                               // 00000000B660: 0ACE0F67
	v_mul_f32_e32 v100, v100, v180                             // 00000000B664: 0AC96964
	v_mul_f32_e32 v101, v101, v181                             // 00000000B668: 0ACB6B65
	v_mul_f32_e32 v102, v102, v182                             // 00000000B66C: 0ACD6D66
	v_mul_f32_e32 v103, v103, v183                             // 00000000B670: 0ACF6F67
	v_mul_f32_e64 v4, -v104, s6                                // 00000000B674: D1050004 20000D68
	v_mul_f32_e64 v5, -v105, s6                                // 00000000B67C: D1050005 20000D69
	v_mul_f32_e64 v6, -v106, s6                                // 00000000B684: D1050006 20000D6A
	v_mul_f32_e64 v7, -v107, s6                                // 00000000B68C: D1050007 20000D6B
	v_exp_f32_e32 v4, v4                                       // 00000000B694: 7E084104
	v_exp_f32_e32 v5, v5                                       // 00000000B698: 7E0A4105
	v_exp_f32_e32 v6, v6                                       // 00000000B69C: 7E0C4106
	v_exp_f32_e32 v7, v7                                       // 00000000B6A0: 7E0E4107
	v_add_f32_e64 v4, v4, 1.0                                  // 00000000B6A4: D1010004 0001E504
	v_add_f32_e64 v5, v5, 1.0                                  // 00000000B6AC: D1010005 0001E505
	v_add_f32_e64 v6, v6, 1.0                                  // 00000000B6B4: D1010006 0001E506
	v_add_f32_e64 v7, v7, 1.0                                  // 00000000B6BC: D1010007 0001E507
	v_rcp_f32_e32 v4, v4                                       // 00000000B6C4: 7E084504
	v_rcp_f32_e32 v5, v5                                       // 00000000B6C8: 7E0A4505
	v_rcp_f32_e32 v6, v6                                       // 00000000B6CC: 7E0C4506
	v_rcp_f32_e32 v7, v7                                       // 00000000B6D0: 7E0E4507
	v_mul_f32_e32 v104, v104, v4                               // 00000000B6D4: 0AD00968
	v_mul_f32_e32 v105, v105, v5                               // 00000000B6D8: 0AD20B69
	v_mul_f32_e32 v106, v106, v6                               // 00000000B6DC: 0AD40D6A
	v_mul_f32_e32 v107, v107, v7                               // 00000000B6E0: 0AD60F6B
	v_mul_f32_e32 v104, v104, v184                             // 00000000B6E4: 0AD17168
	v_mul_f32_e32 v105, v105, v185                             // 00000000B6E8: 0AD37369
	v_mul_f32_e32 v106, v106, v186                             // 00000000B6EC: 0AD5756A
	v_mul_f32_e32 v107, v107, v187                             // 00000000B6F0: 0AD7776B
	v_mul_f32_e64 v4, -v108, s6                                // 00000000B6F4: D1050004 20000D6C
	v_mul_f32_e64 v5, -v109, s6                                // 00000000B6FC: D1050005 20000D6D
	v_mul_f32_e64 v6, -v110, s6                                // 00000000B704: D1050006 20000D6E
	v_mul_f32_e64 v7, -v111, s6                                // 00000000B70C: D1050007 20000D6F
	v_exp_f32_e32 v4, v4                                       // 00000000B714: 7E084104
	v_exp_f32_e32 v5, v5                                       // 00000000B718: 7E0A4105
	v_exp_f32_e32 v6, v6                                       // 00000000B71C: 7E0C4106
	v_exp_f32_e32 v7, v7                                       // 00000000B720: 7E0E4107
	v_add_f32_e64 v4, v4, 1.0                                  // 00000000B724: D1010004 0001E504
	v_add_f32_e64 v5, v5, 1.0                                  // 00000000B72C: D1010005 0001E505
	v_add_f32_e64 v6, v6, 1.0                                  // 00000000B734: D1010006 0001E506
	v_add_f32_e64 v7, v7, 1.0                                  // 00000000B73C: D1010007 0001E507
	v_rcp_f32_e32 v4, v4                                       // 00000000B744: 7E084504
	v_rcp_f32_e32 v5, v5                                       // 00000000B748: 7E0A4505
	v_rcp_f32_e32 v6, v6                                       // 00000000B74C: 7E0C4506
	v_rcp_f32_e32 v7, v7                                       // 00000000B750: 7E0E4507
	v_mul_f32_e32 v108, v108, v4                               // 00000000B754: 0AD8096C
	v_mul_f32_e32 v109, v109, v5                               // 00000000B758: 0ADA0B6D
	v_mul_f32_e32 v110, v110, v6                               // 00000000B75C: 0ADC0D6E
	v_mul_f32_e32 v111, v111, v7                               // 00000000B760: 0ADE0F6F
	v_mul_f32_e32 v108, v108, v188                             // 00000000B764: 0AD9796C
	v_mul_f32_e32 v109, v109, v189                             // 00000000B768: 0ADB7B6D
	v_mul_f32_e32 v110, v110, v190                             // 00000000B76C: 0ADD7D6E
	v_mul_f32_e32 v111, v111, v191                             // 00000000B770: 0ADF7F6F
	v_mul_f32_e64 v4, -v112, s6                                // 00000000B774: D1050004 20000D70
	v_mul_f32_e64 v5, -v113, s6                                // 00000000B77C: D1050005 20000D71
	v_mul_f32_e64 v6, -v114, s6                                // 00000000B784: D1050006 20000D72
	v_mul_f32_e64 v7, -v115, s6                                // 00000000B78C: D1050007 20000D73
	v_exp_f32_e32 v4, v4                                       // 00000000B794: 7E084104
	v_exp_f32_e32 v5, v5                                       // 00000000B798: 7E0A4105
	v_exp_f32_e32 v6, v6                                       // 00000000B79C: 7E0C4106
	v_exp_f32_e32 v7, v7                                       // 00000000B7A0: 7E0E4107
	v_add_f32_e64 v4, v4, 1.0                                  // 00000000B7A4: D1010004 0001E504
	v_add_f32_e64 v5, v5, 1.0                                  // 00000000B7AC: D1010005 0001E505
	v_add_f32_e64 v6, v6, 1.0                                  // 00000000B7B4: D1010006 0001E506
	v_add_f32_e64 v7, v7, 1.0                                  // 00000000B7BC: D1010007 0001E507
	v_rcp_f32_e32 v4, v4                                       // 00000000B7C4: 7E084504
	v_rcp_f32_e32 v5, v5                                       // 00000000B7C8: 7E0A4505
	v_rcp_f32_e32 v6, v6                                       // 00000000B7CC: 7E0C4506
	v_rcp_f32_e32 v7, v7                                       // 00000000B7D0: 7E0E4507
	v_mul_f32_e32 v112, v112, v4                               // 00000000B7D4: 0AE00970
	v_mul_f32_e32 v113, v113, v5                               // 00000000B7D8: 0AE20B71
	v_mul_f32_e32 v114, v114, v6                               // 00000000B7DC: 0AE40D72
	v_mul_f32_e32 v115, v115, v7                               // 00000000B7E0: 0AE60F73
	v_mul_f32_e32 v112, v112, v192                             // 00000000B7E4: 0AE18170
	v_mul_f32_e32 v113, v113, v193                             // 00000000B7E8: 0AE38371
	v_mul_f32_e32 v114, v114, v194                             // 00000000B7EC: 0AE58572
	v_mul_f32_e32 v115, v115, v195                             // 00000000B7F0: 0AE78773
	v_mul_f32_e64 v4, -v116, s6                                // 00000000B7F4: D1050004 20000D74
	v_mul_f32_e64 v5, -v117, s6                                // 00000000B7FC: D1050005 20000D75
	v_mul_f32_e64 v6, -v118, s6                                // 00000000B804: D1050006 20000D76
	v_mul_f32_e64 v7, -v119, s6                                // 00000000B80C: D1050007 20000D77
	v_exp_f32_e32 v4, v4                                       // 00000000B814: 7E084104
	v_exp_f32_e32 v5, v5                                       // 00000000B818: 7E0A4105
	v_exp_f32_e32 v6, v6                                       // 00000000B81C: 7E0C4106
	v_exp_f32_e32 v7, v7                                       // 00000000B820: 7E0E4107
	v_add_f32_e64 v4, v4, 1.0                                  // 00000000B824: D1010004 0001E504
	v_add_f32_e64 v5, v5, 1.0                                  // 00000000B82C: D1010005 0001E505
	v_add_f32_e64 v6, v6, 1.0                                  // 00000000B834: D1010006 0001E506
	v_add_f32_e64 v7, v7, 1.0                                  // 00000000B83C: D1010007 0001E507
	v_rcp_f32_e32 v4, v4                                       // 00000000B844: 7E084504
	v_rcp_f32_e32 v5, v5                                       // 00000000B848: 7E0A4505
	v_rcp_f32_e32 v6, v6                                       // 00000000B84C: 7E0C4506
	v_rcp_f32_e32 v7, v7                                       // 00000000B850: 7E0E4507
	v_mul_f32_e32 v116, v116, v4                               // 00000000B854: 0AE80974
	v_mul_f32_e32 v117, v117, v5                               // 00000000B858: 0AEA0B75
	v_mul_f32_e32 v118, v118, v6                               // 00000000B85C: 0AEC0D76
	v_mul_f32_e32 v119, v119, v7                               // 00000000B860: 0AEE0F77
	v_mul_f32_e32 v116, v116, v196                             // 00000000B864: 0AE98974
	v_mul_f32_e32 v117, v117, v197                             // 00000000B868: 0AEB8B75
	v_mul_f32_e32 v118, v118, v198                             // 00000000B86C: 0AED8D76
	v_mul_f32_e32 v119, v119, v199                             // 00000000B870: 0AEF8F77
	v_mul_f32_e64 v4, -v120, s6                                // 00000000B874: D1050004 20000D78
	v_mul_f32_e64 v5, -v121, s6                                // 00000000B87C: D1050005 20000D79
	v_mul_f32_e64 v6, -v122, s6                                // 00000000B884: D1050006 20000D7A
	v_mul_f32_e64 v7, -v123, s6                                // 00000000B88C: D1050007 20000D7B
	v_exp_f32_e32 v4, v4                                       // 00000000B894: 7E084104
	v_exp_f32_e32 v5, v5                                       // 00000000B898: 7E0A4105
	v_exp_f32_e32 v6, v6                                       // 00000000B89C: 7E0C4106
	v_exp_f32_e32 v7, v7                                       // 00000000B8A0: 7E0E4107
	v_add_f32_e64 v4, v4, 1.0                                  // 00000000B8A4: D1010004 0001E504
	v_add_f32_e64 v5, v5, 1.0                                  // 00000000B8AC: D1010005 0001E505
	v_add_f32_e64 v6, v6, 1.0                                  // 00000000B8B4: D1010006 0001E506
	v_add_f32_e64 v7, v7, 1.0                                  // 00000000B8BC: D1010007 0001E507
	v_rcp_f32_e32 v4, v4                                       // 00000000B8C4: 7E084504
	v_rcp_f32_e32 v5, v5                                       // 00000000B8C8: 7E0A4505
	v_rcp_f32_e32 v6, v6                                       // 00000000B8CC: 7E0C4506
	v_rcp_f32_e32 v7, v7                                       // 00000000B8D0: 7E0E4507
	v_mul_f32_e32 v120, v120, v4                               // 00000000B8D4: 0AF00978
	v_mul_f32_e32 v121, v121, v5                               // 00000000B8D8: 0AF20B79
	v_mul_f32_e32 v122, v122, v6                               // 00000000B8DC: 0AF40D7A
	v_mul_f32_e32 v123, v123, v7                               // 00000000B8E0: 0AF60F7B
	v_mul_f32_e32 v120, v120, v200                             // 00000000B8E4: 0AF19178
	v_mul_f32_e32 v121, v121, v201                             // 00000000B8E8: 0AF39379
	v_mul_f32_e32 v122, v122, v202                             // 00000000B8EC: 0AF5957A
	v_mul_f32_e32 v123, v123, v203                             // 00000000B8F0: 0AF7977B
	v_mul_f32_e64 v4, -v124, s6                                // 00000000B8F4: D1050004 20000D7C
	v_mul_f32_e64 v5, -v125, s6                                // 00000000B8FC: D1050005 20000D7D
	v_mul_f32_e64 v6, -v126, s6                                // 00000000B904: D1050006 20000D7E
	v_mul_f32_e64 v7, -v127, s6                                // 00000000B90C: D1050007 20000D7F
	v_exp_f32_e32 v4, v4                                       // 00000000B914: 7E084104
	v_exp_f32_e32 v5, v5                                       // 00000000B918: 7E0A4105
	v_exp_f32_e32 v6, v6                                       // 00000000B91C: 7E0C4106
	v_exp_f32_e32 v7, v7                                       // 00000000B920: 7E0E4107
	v_add_f32_e64 v4, v4, 1.0                                  // 00000000B924: D1010004 0001E504
	v_add_f32_e64 v5, v5, 1.0                                  // 00000000B92C: D1010005 0001E505
	v_add_f32_e64 v6, v6, 1.0                                  // 00000000B934: D1010006 0001E506
	v_add_f32_e64 v7, v7, 1.0                                  // 00000000B93C: D1010007 0001E507
	v_rcp_f32_e32 v4, v4                                       // 00000000B944: 7E084504
	v_rcp_f32_e32 v5, v5                                       // 00000000B948: 7E0A4505
	v_rcp_f32_e32 v6, v6                                       // 00000000B94C: 7E0C4506
	v_rcp_f32_e32 v7, v7                                       // 00000000B950: 7E0E4507
	v_mul_f32_e32 v124, v124, v4                               // 00000000B954: 0AF8097C
	v_mul_f32_e32 v125, v125, v5                               // 00000000B958: 0AFA0B7D
	v_mul_f32_e32 v126, v126, v6                               // 00000000B95C: 0AFC0D7E
	v_mul_f32_e32 v127, v127, v7                               // 00000000B960: 0AFE0F7F
	v_mul_f32_e32 v124, v124, v204                             // 00000000B964: 0AF9997C
	v_mul_f32_e32 v125, v125, v205                             // 00000000B968: 0AFB9B7D
	v_mul_f32_e32 v126, v126, v206                             // 00000000B96C: 0AFD9D7E
	v_mul_f32_e32 v127, v127, v207                             // 00000000B970: 0AFF9F7F
	v_mul_f32_e64 v4, -v128, s6                                // 00000000B974: D1050004 20000D80
	v_mul_f32_e64 v5, -v129, s6                                // 00000000B97C: D1050005 20000D81
	v_mul_f32_e64 v6, -v130, s6                                // 00000000B984: D1050006 20000D82
	v_mul_f32_e64 v7, -v131, s6                                // 00000000B98C: D1050007 20000D83
	v_exp_f32_e32 v4, v4                                       // 00000000B994: 7E084104
	v_exp_f32_e32 v5, v5                                       // 00000000B998: 7E0A4105
	v_exp_f32_e32 v6, v6                                       // 00000000B99C: 7E0C4106
	v_exp_f32_e32 v7, v7                                       // 00000000B9A0: 7E0E4107
	v_add_f32_e64 v4, v4, 1.0                                  // 00000000B9A4: D1010004 0001E504
	v_add_f32_e64 v5, v5, 1.0                                  // 00000000B9AC: D1010005 0001E505
	v_add_f32_e64 v6, v6, 1.0                                  // 00000000B9B4: D1010006 0001E506
	v_add_f32_e64 v7, v7, 1.0                                  // 00000000B9BC: D1010007 0001E507
	v_rcp_f32_e32 v4, v4                                       // 00000000B9C4: 7E084504
	v_rcp_f32_e32 v5, v5                                       // 00000000B9C8: 7E0A4505
	v_rcp_f32_e32 v6, v6                                       // 00000000B9CC: 7E0C4506
	v_rcp_f32_e32 v7, v7                                       // 00000000B9D0: 7E0E4507
	v_mul_f32_e32 v128, v128, v4                               // 00000000B9D4: 0B000980
	v_mul_f32_e32 v129, v129, v5                               // 00000000B9D8: 0B020B81
	v_mul_f32_e32 v130, v130, v6                               // 00000000B9DC: 0B040D82
	v_mul_f32_e32 v131, v131, v7                               // 00000000B9E0: 0B060F83
	v_mul_f32_e32 v128, v128, v208                             // 00000000B9E4: 0B01A180
	v_mul_f32_e32 v129, v129, v209                             // 00000000B9E8: 0B03A381
	v_mul_f32_e32 v130, v130, v210                             // 00000000B9EC: 0B05A582
	v_mul_f32_e32 v131, v131, v211                             // 00000000B9F0: 0B07A783
	v_mul_f32_e64 v4, -v132, s6                                // 00000000B9F4: D1050004 20000D84
	v_mul_f32_e64 v5, -v133, s6                                // 00000000B9FC: D1050005 20000D85
	v_mul_f32_e64 v6, -v134, s6                                // 00000000BA04: D1050006 20000D86
	v_mul_f32_e64 v7, -v135, s6                                // 00000000BA0C: D1050007 20000D87
	v_exp_f32_e32 v4, v4                                       // 00000000BA14: 7E084104
	v_exp_f32_e32 v5, v5                                       // 00000000BA18: 7E0A4105
	v_exp_f32_e32 v6, v6                                       // 00000000BA1C: 7E0C4106
	v_exp_f32_e32 v7, v7                                       // 00000000BA20: 7E0E4107
	v_add_f32_e64 v4, v4, 1.0                                  // 00000000BA24: D1010004 0001E504
	v_add_f32_e64 v5, v5, 1.0                                  // 00000000BA2C: D1010005 0001E505
	v_add_f32_e64 v6, v6, 1.0                                  // 00000000BA34: D1010006 0001E506
	v_add_f32_e64 v7, v7, 1.0                                  // 00000000BA3C: D1010007 0001E507
	v_rcp_f32_e32 v4, v4                                       // 00000000BA44: 7E084504
	v_rcp_f32_e32 v5, v5                                       // 00000000BA48: 7E0A4505
	v_rcp_f32_e32 v6, v6                                       // 00000000BA4C: 7E0C4506
	v_rcp_f32_e32 v7, v7                                       // 00000000BA50: 7E0E4507
	v_mul_f32_e32 v132, v132, v4                               // 00000000BA54: 0B080984
	v_mul_f32_e32 v133, v133, v5                               // 00000000BA58: 0B0A0B85
	v_mul_f32_e32 v134, v134, v6                               // 00000000BA5C: 0B0C0D86
	v_mul_f32_e32 v135, v135, v7                               // 00000000BA60: 0B0E0F87
	v_mul_f32_e32 v132, v132, v212                             // 00000000BA64: 0B09A984
	v_mul_f32_e32 v133, v133, v213                             // 00000000BA68: 0B0BAB85
	v_mul_f32_e32 v134, v134, v214                             // 00000000BA6C: 0B0DAD86
	v_mul_f32_e32 v135, v135, v215                             // 00000000BA70: 0B0FAF87
	v_mul_f32_e64 v4, -v136, s6                                // 00000000BA74: D1050004 20000D88
	v_mul_f32_e64 v5, -v137, s6                                // 00000000BA7C: D1050005 20000D89
	v_mul_f32_e64 v6, -v138, s6                                // 00000000BA84: D1050006 20000D8A
	v_mul_f32_e64 v7, -v139, s6                                // 00000000BA8C: D1050007 20000D8B
	v_exp_f32_e32 v4, v4                                       // 00000000BA94: 7E084104
	v_exp_f32_e32 v5, v5                                       // 00000000BA98: 7E0A4105
	v_exp_f32_e32 v6, v6                                       // 00000000BA9C: 7E0C4106
	v_exp_f32_e32 v7, v7                                       // 00000000BAA0: 7E0E4107
	v_add_f32_e64 v4, v4, 1.0                                  // 00000000BAA4: D1010004 0001E504
	v_add_f32_e64 v5, v5, 1.0                                  // 00000000BAAC: D1010005 0001E505
	v_add_f32_e64 v6, v6, 1.0                                  // 00000000BAB4: D1010006 0001E506
	v_add_f32_e64 v7, v7, 1.0                                  // 00000000BABC: D1010007 0001E507
	v_rcp_f32_e32 v4, v4                                       // 00000000BAC4: 7E084504
	v_rcp_f32_e32 v5, v5                                       // 00000000BAC8: 7E0A4505
	v_rcp_f32_e32 v6, v6                                       // 00000000BACC: 7E0C4506
	v_rcp_f32_e32 v7, v7                                       // 00000000BAD0: 7E0E4507
	v_mul_f32_e32 v136, v136, v4                               // 00000000BAD4: 0B100988
	v_mul_f32_e32 v137, v137, v5                               // 00000000BAD8: 0B120B89
	v_mul_f32_e32 v138, v138, v6                               // 00000000BADC: 0B140D8A
	v_mul_f32_e32 v139, v139, v7                               // 00000000BAE0: 0B160F8B
	v_mul_f32_e32 v136, v136, v216                             // 00000000BAE4: 0B11B188
	v_mul_f32_e32 v137, v137, v217                             // 00000000BAE8: 0B13B389
	v_mul_f32_e32 v138, v138, v218                             // 00000000BAEC: 0B15B58A
	v_mul_f32_e32 v139, v139, v219                             // 00000000BAF0: 0B17B78B
	v_mul_f32_e64 v4, -v140, s6                                // 00000000BAF4: D1050004 20000D8C
	v_mul_f32_e64 v5, -v141, s6                                // 00000000BAFC: D1050005 20000D8D
	v_mul_f32_e64 v6, -v142, s6                                // 00000000BB04: D1050006 20000D8E
	v_mul_f32_e64 v7, -v143, s6                                // 00000000BB0C: D1050007 20000D8F
	v_exp_f32_e32 v4, v4                                       // 00000000BB14: 7E084104
	v_exp_f32_e32 v5, v5                                       // 00000000BB18: 7E0A4105
	v_exp_f32_e32 v6, v6                                       // 00000000BB1C: 7E0C4106
	v_exp_f32_e32 v7, v7                                       // 00000000BB20: 7E0E4107
	v_add_f32_e64 v4, v4, 1.0                                  // 00000000BB24: D1010004 0001E504
	v_add_f32_e64 v5, v5, 1.0                                  // 00000000BB2C: D1010005 0001E505
	v_add_f32_e64 v6, v6, 1.0                                  // 00000000BB34: D1010006 0001E506
	v_add_f32_e64 v7, v7, 1.0                                  // 00000000BB3C: D1010007 0001E507
	v_rcp_f32_e32 v4, v4                                       // 00000000BB44: 7E084504
	v_rcp_f32_e32 v5, v5                                       // 00000000BB48: 7E0A4505
	v_rcp_f32_e32 v6, v6                                       // 00000000BB4C: 7E0C4506
	v_rcp_f32_e32 v7, v7                                       // 00000000BB50: 7E0E4507
	v_mul_f32_e32 v140, v140, v4                               // 00000000BB54: 0B18098C
	v_mul_f32_e32 v141, v141, v5                               // 00000000BB58: 0B1A0B8D
	v_mul_f32_e32 v142, v142, v6                               // 00000000BB5C: 0B1C0D8E
	v_mul_f32_e32 v143, v143, v7                               // 00000000BB60: 0B1E0F8F
	v_mul_f32_e32 v140, v140, v220                             // 00000000BB64: 0B19B98C
	v_mul_f32_e32 v141, v141, v221                             // 00000000BB68: 0B1BBB8D
	v_mul_f32_e32 v142, v142, v222                             // 00000000BB6C: 0B1DBD8E
	v_mul_f32_e32 v143, v143, v223                             // 00000000BB70: 0B1FBF8F

000000000000bb74 <label_2460>:
	v_cmp_u_f32_e64 s[46:47], v64, v64                         // 00000000BB74: D048002E 00028140
	v_add3_u32 v16, v64, v19, 1                                // 00000000BB7C: D1FF0010 02062740
	v_cndmask_b32_e64 v4, v16, v18, s[46:47]                   // 00000000BB84: D1000004 00BA2510
	v_cmp_u_f32_e64 s[46:47], v65, v65                         // 00000000BB8C: D048002E 00028341
	v_add3_u32 v16, v65, v19, 1                                // 00000000BB94: D1FF0010 02062741
	v_cndmask_b32_e64 v5, v16, v18, s[46:47]                   // 00000000BB9C: D1000005 00BA2510
	v_perm_b32 v64, v5, v4, s52                                // 00000000BBA4: D1ED0040 00D20905
	v_cmp_u_f32_e64 s[46:47], v66, v66                         // 00000000BBAC: D048002E 00028542
	v_add3_u32 v16, v66, v19, 1                                // 00000000BBB4: D1FF0010 02062742
	v_cndmask_b32_e64 v4, v16, v18, s[46:47]                   // 00000000BBBC: D1000004 00BA2510
	v_cmp_u_f32_e64 s[46:47], v67, v67                         // 00000000BBC4: D048002E 00028743
	v_add3_u32 v16, v67, v19, 1                                // 00000000BBCC: D1FF0010 02062743
	v_cndmask_b32_e64 v5, v16, v18, s[46:47]                   // 00000000BBD4: D1000005 00BA2510
	v_perm_b32 v65, v5, v4, s52                                // 00000000BBDC: D1ED0041 00D20905
	v_cmp_u_f32_e64 s[46:47], v68, v68                         // 00000000BBE4: D048002E 00028944
	v_add3_u32 v16, v68, v19, 1                                // 00000000BBEC: D1FF0010 02062744
	v_cndmask_b32_e64 v4, v16, v18, s[46:47]                   // 00000000BBF4: D1000004 00BA2510
	v_cmp_u_f32_e64 s[46:47], v69, v69                         // 00000000BBFC: D048002E 00028B45
	v_add3_u32 v16, v69, v19, 1                                // 00000000BC04: D1FF0010 02062745
	v_cndmask_b32_e64 v5, v16, v18, s[46:47]                   // 00000000BC0C: D1000005 00BA2510
	v_perm_b32 v66, v5, v4, s52                                // 00000000BC14: D1ED0042 00D20905
	v_cmp_u_f32_e64 s[46:47], v70, v70                         // 00000000BC1C: D048002E 00028D46
	v_add3_u32 v16, v70, v19, 1                                // 00000000BC24: D1FF0010 02062746
	v_cndmask_b32_e64 v4, v16, v18, s[46:47]                   // 00000000BC2C: D1000004 00BA2510
	v_cmp_u_f32_e64 s[46:47], v71, v71                         // 00000000BC34: D048002E 00028F47
	v_add3_u32 v16, v71, v19, 1                                // 00000000BC3C: D1FF0010 02062747
	v_cndmask_b32_e64 v5, v16, v18, s[46:47]                   // 00000000BC44: D1000005 00BA2510
	v_perm_b32 v67, v5, v4, s52                                // 00000000BC4C: D1ED0043 00D20905
	v_cmp_u_f32_e64 s[46:47], v72, v72                         // 00000000BC54: D048002E 00029148
	v_add3_u32 v16, v72, v19, 1                                // 00000000BC5C: D1FF0010 02062748
	v_cndmask_b32_e64 v4, v16, v18, s[46:47]                   // 00000000BC64: D1000004 00BA2510
	v_cmp_u_f32_e64 s[46:47], v73, v73                         // 00000000BC6C: D048002E 00029349
	v_add3_u32 v16, v73, v19, 1                                // 00000000BC74: D1FF0010 02062749
	v_cndmask_b32_e64 v5, v16, v18, s[46:47]                   // 00000000BC7C: D1000005 00BA2510
	v_perm_b32 v68, v5, v4, s52                                // 00000000BC84: D1ED0044 00D20905
	v_cmp_u_f32_e64 s[46:47], v74, v74                         // 00000000BC8C: D048002E 0002954A
	v_add3_u32 v16, v74, v19, 1                                // 00000000BC94: D1FF0010 0206274A
	v_cndmask_b32_e64 v4, v16, v18, s[46:47]                   // 00000000BC9C: D1000004 00BA2510
	v_cmp_u_f32_e64 s[46:47], v75, v75                         // 00000000BCA4: D048002E 0002974B
	v_add3_u32 v16, v75, v19, 1                                // 00000000BCAC: D1FF0010 0206274B
	v_cndmask_b32_e64 v5, v16, v18, s[46:47]                   // 00000000BCB4: D1000005 00BA2510
	v_perm_b32 v69, v5, v4, s52                                // 00000000BCBC: D1ED0045 00D20905
	v_cmp_u_f32_e64 s[46:47], v76, v76                         // 00000000BCC4: D048002E 0002994C
	v_add3_u32 v16, v76, v19, 1                                // 00000000BCCC: D1FF0010 0206274C
	v_cndmask_b32_e64 v4, v16, v18, s[46:47]                   // 00000000BCD4: D1000004 00BA2510
	v_cmp_u_f32_e64 s[46:47], v77, v77                         // 00000000BCDC: D048002E 00029B4D
	v_add3_u32 v16, v77, v19, 1                                // 00000000BCE4: D1FF0010 0206274D
	v_cndmask_b32_e64 v5, v16, v18, s[46:47]                   // 00000000BCEC: D1000005 00BA2510
	v_perm_b32 v70, v5, v4, s52                                // 00000000BCF4: D1ED0046 00D20905
	v_cmp_u_f32_e64 s[46:47], v78, v78                         // 00000000BCFC: D048002E 00029D4E
	v_add3_u32 v16, v78, v19, 1                                // 00000000BD04: D1FF0010 0206274E
	v_cndmask_b32_e64 v4, v16, v18, s[46:47]                   // 00000000BD0C: D1000004 00BA2510
	v_cmp_u_f32_e64 s[46:47], v79, v79                         // 00000000BD14: D048002E 00029F4F
	v_add3_u32 v16, v79, v19, 1                                // 00000000BD1C: D1FF0010 0206274F
	v_cndmask_b32_e64 v5, v16, v18, s[46:47]                   // 00000000BD24: D1000005 00BA2510
	v_perm_b32 v71, v5, v4, s52                                // 00000000BD2C: D1ED0047 00D20905
	v_cmp_u_f32_e64 s[46:47], v80, v80                         // 00000000BD34: D048002E 0002A150
	v_add3_u32 v16, v80, v19, 1                                // 00000000BD3C: D1FF0010 02062750
	v_cndmask_b32_e64 v4, v16, v18, s[46:47]                   // 00000000BD44: D1000004 00BA2510
	v_cmp_u_f32_e64 s[46:47], v81, v81                         // 00000000BD4C: D048002E 0002A351
	v_add3_u32 v16, v81, v19, 1                                // 00000000BD54: D1FF0010 02062751
	v_cndmask_b32_e64 v5, v16, v18, s[46:47]                   // 00000000BD5C: D1000005 00BA2510
	v_perm_b32 v72, v5, v4, s52                                // 00000000BD64: D1ED0048 00D20905
	v_cmp_u_f32_e64 s[46:47], v82, v82                         // 00000000BD6C: D048002E 0002A552
	v_add3_u32 v16, v82, v19, 1                                // 00000000BD74: D1FF0010 02062752
	v_cndmask_b32_e64 v4, v16, v18, s[46:47]                   // 00000000BD7C: D1000004 00BA2510
	v_cmp_u_f32_e64 s[46:47], v83, v83                         // 00000000BD84: D048002E 0002A753
	v_add3_u32 v16, v83, v19, 1                                // 00000000BD8C: D1FF0010 02062753
	v_cndmask_b32_e64 v5, v16, v18, s[46:47]                   // 00000000BD94: D1000005 00BA2510
	v_perm_b32 v73, v5, v4, s52                                // 00000000BD9C: D1ED0049 00D20905
	v_cmp_u_f32_e64 s[46:47], v84, v84                         // 00000000BDA4: D048002E 0002A954
	v_add3_u32 v16, v84, v19, 1                                // 00000000BDAC: D1FF0010 02062754
	v_cndmask_b32_e64 v4, v16, v18, s[46:47]                   // 00000000BDB4: D1000004 00BA2510
	v_cmp_u_f32_e64 s[46:47], v85, v85                         // 00000000BDBC: D048002E 0002AB55
	v_add3_u32 v16, v85, v19, 1                                // 00000000BDC4: D1FF0010 02062755
	v_cndmask_b32_e64 v5, v16, v18, s[46:47]                   // 00000000BDCC: D1000005 00BA2510
	v_perm_b32 v74, v5, v4, s52                                // 00000000BDD4: D1ED004A 00D20905
	v_cmp_u_f32_e64 s[46:47], v86, v86                         // 00000000BDDC: D048002E 0002AD56
	v_add3_u32 v16, v86, v19, 1                                // 00000000BDE4: D1FF0010 02062756
	v_cndmask_b32_e64 v4, v16, v18, s[46:47]                   // 00000000BDEC: D1000004 00BA2510
	v_cmp_u_f32_e64 s[46:47], v87, v87                         // 00000000BDF4: D048002E 0002AF57
	v_add3_u32 v16, v87, v19, 1                                // 00000000BDFC: D1FF0010 02062757
	v_cndmask_b32_e64 v5, v16, v18, s[46:47]                   // 00000000BE04: D1000005 00BA2510
	v_perm_b32 v75, v5, v4, s52                                // 00000000BE0C: D1ED004B 00D20905
	v_cmp_u_f32_e64 s[46:47], v88, v88                         // 00000000BE14: D048002E 0002B158
	v_add3_u32 v16, v88, v19, 1                                // 00000000BE1C: D1FF0010 02062758
	v_cndmask_b32_e64 v4, v16, v18, s[46:47]                   // 00000000BE24: D1000004 00BA2510
	v_cmp_u_f32_e64 s[46:47], v89, v89                         // 00000000BE2C: D048002E 0002B359
	v_add3_u32 v16, v89, v19, 1                                // 00000000BE34: D1FF0010 02062759
	v_cndmask_b32_e64 v5, v16, v18, s[46:47]                   // 00000000BE3C: D1000005 00BA2510
	v_perm_b32 v76, v5, v4, s52                                // 00000000BE44: D1ED004C 00D20905
	v_cmp_u_f32_e64 s[46:47], v90, v90                         // 00000000BE4C: D048002E 0002B55A
	v_add3_u32 v16, v90, v19, 1                                // 00000000BE54: D1FF0010 0206275A
	v_cndmask_b32_e64 v4, v16, v18, s[46:47]                   // 00000000BE5C: D1000004 00BA2510
	v_cmp_u_f32_e64 s[46:47], v91, v91                         // 00000000BE64: D048002E 0002B75B
	v_add3_u32 v16, v91, v19, 1                                // 00000000BE6C: D1FF0010 0206275B
	v_cndmask_b32_e64 v5, v16, v18, s[46:47]                   // 00000000BE74: D1000005 00BA2510
	v_perm_b32 v77, v5, v4, s52                                // 00000000BE7C: D1ED004D 00D20905
	v_cmp_u_f32_e64 s[46:47], v92, v92                         // 00000000BE84: D048002E 0002B95C
	v_add3_u32 v16, v92, v19, 1                                // 00000000BE8C: D1FF0010 0206275C
	v_cndmask_b32_e64 v4, v16, v18, s[46:47]                   // 00000000BE94: D1000004 00BA2510
	v_cmp_u_f32_e64 s[46:47], v93, v93                         // 00000000BE9C: D048002E 0002BB5D
	v_add3_u32 v16, v93, v19, 1                                // 00000000BEA4: D1FF0010 0206275D
	v_cndmask_b32_e64 v5, v16, v18, s[46:47]                   // 00000000BEAC: D1000005 00BA2510
	v_perm_b32 v78, v5, v4, s52                                // 00000000BEB4: D1ED004E 00D20905
	v_cmp_u_f32_e64 s[46:47], v94, v94                         // 00000000BEBC: D048002E 0002BD5E
	v_add3_u32 v16, v94, v19, 1                                // 00000000BEC4: D1FF0010 0206275E
	v_cndmask_b32_e64 v4, v16, v18, s[46:47]                   // 00000000BECC: D1000004 00BA2510
	v_cmp_u_f32_e64 s[46:47], v95, v95                         // 00000000BED4: D048002E 0002BF5F
	v_add3_u32 v16, v95, v19, 1                                // 00000000BEDC: D1FF0010 0206275F
	v_cndmask_b32_e64 v5, v16, v18, s[46:47]                   // 00000000BEE4: D1000005 00BA2510
	v_perm_b32 v79, v5, v4, s52                                // 00000000BEEC: D1ED004F 00D20905
	v_cmp_u_f32_e64 s[46:47], v96, v96                         // 00000000BEF4: D048002E 0002C160
	v_add3_u32 v16, v96, v19, 1                                // 00000000BEFC: D1FF0010 02062760
	v_cndmask_b32_e64 v4, v16, v18, s[46:47]                   // 00000000BF04: D1000004 00BA2510
	v_cmp_u_f32_e64 s[46:47], v97, v97                         // 00000000BF0C: D048002E 0002C361
	v_add3_u32 v16, v97, v19, 1                                // 00000000BF14: D1FF0010 02062761
	v_cndmask_b32_e64 v5, v16, v18, s[46:47]                   // 00000000BF1C: D1000005 00BA2510
	v_perm_b32 v80, v5, v4, s52                                // 00000000BF24: D1ED0050 00D20905
	v_cmp_u_f32_e64 s[46:47], v98, v98                         // 00000000BF2C: D048002E 0002C562
	v_add3_u32 v16, v98, v19, 1                                // 00000000BF34: D1FF0010 02062762
	v_cndmask_b32_e64 v4, v16, v18, s[46:47]                   // 00000000BF3C: D1000004 00BA2510
	v_cmp_u_f32_e64 s[46:47], v99, v99                         // 00000000BF44: D048002E 0002C763
	v_add3_u32 v16, v99, v19, 1                                // 00000000BF4C: D1FF0010 02062763
	v_cndmask_b32_e64 v5, v16, v18, s[46:47]                   // 00000000BF54: D1000005 00BA2510
	v_perm_b32 v81, v5, v4, s52                                // 00000000BF5C: D1ED0051 00D20905
	v_cmp_u_f32_e64 s[46:47], v100, v100                       // 00000000BF64: D048002E 0002C964
	v_add3_u32 v16, v100, v19, 1                               // 00000000BF6C: D1FF0010 02062764
	v_cndmask_b32_e64 v4, v16, v18, s[46:47]                   // 00000000BF74: D1000004 00BA2510
	v_cmp_u_f32_e64 s[46:47], v101, v101                       // 00000000BF7C: D048002E 0002CB65
	v_add3_u32 v16, v101, v19, 1                               // 00000000BF84: D1FF0010 02062765
	v_cndmask_b32_e64 v5, v16, v18, s[46:47]                   // 00000000BF8C: D1000005 00BA2510
	v_perm_b32 v82, v5, v4, s52                                // 00000000BF94: D1ED0052 00D20905
	v_cmp_u_f32_e64 s[46:47], v102, v102                       // 00000000BF9C: D048002E 0002CD66
	v_add3_u32 v16, v102, v19, 1                               // 00000000BFA4: D1FF0010 02062766
	v_cndmask_b32_e64 v4, v16, v18, s[46:47]                   // 00000000BFAC: D1000004 00BA2510
	v_cmp_u_f32_e64 s[46:47], v103, v103                       // 00000000BFB4: D048002E 0002CF67
	v_add3_u32 v16, v103, v19, 1                               // 00000000BFBC: D1FF0010 02062767
	v_cndmask_b32_e64 v5, v16, v18, s[46:47]                   // 00000000BFC4: D1000005 00BA2510
	v_perm_b32 v83, v5, v4, s52                                // 00000000BFCC: D1ED0053 00D20905
	v_cmp_u_f32_e64 s[46:47], v104, v104                       // 00000000BFD4: D048002E 0002D168
	v_add3_u32 v16, v104, v19, 1                               // 00000000BFDC: D1FF0010 02062768
	v_cndmask_b32_e64 v4, v16, v18, s[46:47]                   // 00000000BFE4: D1000004 00BA2510
	v_cmp_u_f32_e64 s[46:47], v105, v105                       // 00000000BFEC: D048002E 0002D369
	v_add3_u32 v16, v105, v19, 1                               // 00000000BFF4: D1FF0010 02062769
	v_cndmask_b32_e64 v5, v16, v18, s[46:47]                   // 00000000BFFC: D1000005 00BA2510
	v_perm_b32 v84, v5, v4, s52                                // 00000000C004: D1ED0054 00D20905
	v_cmp_u_f32_e64 s[46:47], v106, v106                       // 00000000C00C: D048002E 0002D56A
	v_add3_u32 v16, v106, v19, 1                               // 00000000C014: D1FF0010 0206276A
	v_cndmask_b32_e64 v4, v16, v18, s[46:47]                   // 00000000C01C: D1000004 00BA2510
	v_cmp_u_f32_e64 s[46:47], v107, v107                       // 00000000C024: D048002E 0002D76B
	v_add3_u32 v16, v107, v19, 1                               // 00000000C02C: D1FF0010 0206276B
	v_cndmask_b32_e64 v5, v16, v18, s[46:47]                   // 00000000C034: D1000005 00BA2510
	v_perm_b32 v85, v5, v4, s52                                // 00000000C03C: D1ED0055 00D20905
	v_cmp_u_f32_e64 s[46:47], v108, v108                       // 00000000C044: D048002E 0002D96C
	v_add3_u32 v16, v108, v19, 1                               // 00000000C04C: D1FF0010 0206276C
	v_cndmask_b32_e64 v4, v16, v18, s[46:47]                   // 00000000C054: D1000004 00BA2510
	v_cmp_u_f32_e64 s[46:47], v109, v109                       // 00000000C05C: D048002E 0002DB6D
	v_add3_u32 v16, v109, v19, 1                               // 00000000C064: D1FF0010 0206276D
	v_cndmask_b32_e64 v5, v16, v18, s[46:47]                   // 00000000C06C: D1000005 00BA2510
	v_perm_b32 v86, v5, v4, s52                                // 00000000C074: D1ED0056 00D20905
	v_cmp_u_f32_e64 s[46:47], v110, v110                       // 00000000C07C: D048002E 0002DD6E
	v_add3_u32 v16, v110, v19, 1                               // 00000000C084: D1FF0010 0206276E
	v_cndmask_b32_e64 v4, v16, v18, s[46:47]                   // 00000000C08C: D1000004 00BA2510
	v_cmp_u_f32_e64 s[46:47], v111, v111                       // 00000000C094: D048002E 0002DF6F
	v_add3_u32 v16, v111, v19, 1                               // 00000000C09C: D1FF0010 0206276F
	v_cndmask_b32_e64 v5, v16, v18, s[46:47]                   // 00000000C0A4: D1000005 00BA2510
	v_perm_b32 v87, v5, v4, s52                                // 00000000C0AC: D1ED0057 00D20905
	v_cmp_u_f32_e64 s[46:47], v112, v112                       // 00000000C0B4: D048002E 0002E170
	v_add3_u32 v16, v112, v19, 1                               // 00000000C0BC: D1FF0010 02062770
	v_cndmask_b32_e64 v4, v16, v18, s[46:47]                   // 00000000C0C4: D1000004 00BA2510
	v_cmp_u_f32_e64 s[46:47], v113, v113                       // 00000000C0CC: D048002E 0002E371
	v_add3_u32 v16, v113, v19, 1                               // 00000000C0D4: D1FF0010 02062771
	v_cndmask_b32_e64 v5, v16, v18, s[46:47]                   // 00000000C0DC: D1000005 00BA2510
	v_perm_b32 v88, v5, v4, s52                                // 00000000C0E4: D1ED0058 00D20905
	v_cmp_u_f32_e64 s[46:47], v114, v114                       // 00000000C0EC: D048002E 0002E572
	v_add3_u32 v16, v114, v19, 1                               // 00000000C0F4: D1FF0010 02062772
	v_cndmask_b32_e64 v4, v16, v18, s[46:47]                   // 00000000C0FC: D1000004 00BA2510
	v_cmp_u_f32_e64 s[46:47], v115, v115                       // 00000000C104: D048002E 0002E773
	v_add3_u32 v16, v115, v19, 1                               // 00000000C10C: D1FF0010 02062773
	v_cndmask_b32_e64 v5, v16, v18, s[46:47]                   // 00000000C114: D1000005 00BA2510
	v_perm_b32 v89, v5, v4, s52                                // 00000000C11C: D1ED0059 00D20905
	v_cmp_u_f32_e64 s[46:47], v116, v116                       // 00000000C124: D048002E 0002E974
	v_add3_u32 v16, v116, v19, 1                               // 00000000C12C: D1FF0010 02062774
	v_cndmask_b32_e64 v4, v16, v18, s[46:47]                   // 00000000C134: D1000004 00BA2510
	v_cmp_u_f32_e64 s[46:47], v117, v117                       // 00000000C13C: D048002E 0002EB75
	v_add3_u32 v16, v117, v19, 1                               // 00000000C144: D1FF0010 02062775
	v_cndmask_b32_e64 v5, v16, v18, s[46:47]                   // 00000000C14C: D1000005 00BA2510
	v_perm_b32 v90, v5, v4, s52                                // 00000000C154: D1ED005A 00D20905
	v_cmp_u_f32_e64 s[46:47], v118, v118                       // 00000000C15C: D048002E 0002ED76
	v_add3_u32 v16, v118, v19, 1                               // 00000000C164: D1FF0010 02062776
	v_cndmask_b32_e64 v4, v16, v18, s[46:47]                   // 00000000C16C: D1000004 00BA2510
	v_cmp_u_f32_e64 s[46:47], v119, v119                       // 00000000C174: D048002E 0002EF77
	v_add3_u32 v16, v119, v19, 1                               // 00000000C17C: D1FF0010 02062777
	v_cndmask_b32_e64 v5, v16, v18, s[46:47]                   // 00000000C184: D1000005 00BA2510
	v_perm_b32 v91, v5, v4, s52                                // 00000000C18C: D1ED005B 00D20905
	v_cmp_u_f32_e64 s[46:47], v120, v120                       // 00000000C194: D048002E 0002F178
	v_add3_u32 v16, v120, v19, 1                               // 00000000C19C: D1FF0010 02062778
	v_cndmask_b32_e64 v4, v16, v18, s[46:47]                   // 00000000C1A4: D1000004 00BA2510
	v_cmp_u_f32_e64 s[46:47], v121, v121                       // 00000000C1AC: D048002E 0002F379
	v_add3_u32 v16, v121, v19, 1                               // 00000000C1B4: D1FF0010 02062779
	v_cndmask_b32_e64 v5, v16, v18, s[46:47]                   // 00000000C1BC: D1000005 00BA2510
	v_perm_b32 v92, v5, v4, s52                                // 00000000C1C4: D1ED005C 00D20905
	v_cmp_u_f32_e64 s[46:47], v122, v122                       // 00000000C1CC: D048002E 0002F57A
	v_add3_u32 v16, v122, v19, 1                               // 00000000C1D4: D1FF0010 0206277A
	v_cndmask_b32_e64 v4, v16, v18, s[46:47]                   // 00000000C1DC: D1000004 00BA2510
	v_cmp_u_f32_e64 s[46:47], v123, v123                       // 00000000C1E4: D048002E 0002F77B
	v_add3_u32 v16, v123, v19, 1                               // 00000000C1EC: D1FF0010 0206277B
	v_cndmask_b32_e64 v5, v16, v18, s[46:47]                   // 00000000C1F4: D1000005 00BA2510
	v_perm_b32 v93, v5, v4, s52                                // 00000000C1FC: D1ED005D 00D20905
	v_cmp_u_f32_e64 s[46:47], v124, v124                       // 00000000C204: D048002E 0002F97C
	v_add3_u32 v16, v124, v19, 1                               // 00000000C20C: D1FF0010 0206277C
	v_cndmask_b32_e64 v4, v16, v18, s[46:47]                   // 00000000C214: D1000004 00BA2510
	v_cmp_u_f32_e64 s[46:47], v125, v125                       // 00000000C21C: D048002E 0002FB7D
	v_add3_u32 v16, v125, v19, 1                               // 00000000C224: D1FF0010 0206277D
	v_cndmask_b32_e64 v5, v16, v18, s[46:47]                   // 00000000C22C: D1000005 00BA2510
	v_perm_b32 v94, v5, v4, s52                                // 00000000C234: D1ED005E 00D20905
	v_cmp_u_f32_e64 s[46:47], v126, v126                       // 00000000C23C: D048002E 0002FD7E
	v_add3_u32 v16, v126, v19, 1                               // 00000000C244: D1FF0010 0206277E
	v_cndmask_b32_e64 v4, v16, v18, s[46:47]                   // 00000000C24C: D1000004 00BA2510
	v_cmp_u_f32_e64 s[46:47], v127, v127                       // 00000000C254: D048002E 0002FF7F
	v_add3_u32 v16, v127, v19, 1                               // 00000000C25C: D1FF0010 0206277F
	v_cndmask_b32_e64 v5, v16, v18, s[46:47]                   // 00000000C264: D1000005 00BA2510
	v_perm_b32 v95, v5, v4, s52                                // 00000000C26C: D1ED005F 00D20905
	v_cmp_u_f32_e64 s[46:47], v128, v128                       // 00000000C274: D048002E 00030180
	v_add3_u32 v16, v128, v19, 1                               // 00000000C27C: D1FF0010 02062780
	v_cndmask_b32_e64 v4, v16, v18, s[46:47]                   // 00000000C284: D1000004 00BA2510
	v_cmp_u_f32_e64 s[46:47], v129, v129                       // 00000000C28C: D048002E 00030381
	v_add3_u32 v16, v129, v19, 1                               // 00000000C294: D1FF0010 02062781
	v_cndmask_b32_e64 v5, v16, v18, s[46:47]                   // 00000000C29C: D1000005 00BA2510
	v_perm_b32 v96, v5, v4, s52                                // 00000000C2A4: D1ED0060 00D20905
	v_cmp_u_f32_e64 s[46:47], v130, v130                       // 00000000C2AC: D048002E 00030582
	v_add3_u32 v16, v130, v19, 1                               // 00000000C2B4: D1FF0010 02062782
	v_cndmask_b32_e64 v4, v16, v18, s[46:47]                   // 00000000C2BC: D1000004 00BA2510
	v_cmp_u_f32_e64 s[46:47], v131, v131                       // 00000000C2C4: D048002E 00030783
	v_add3_u32 v16, v131, v19, 1                               // 00000000C2CC: D1FF0010 02062783
	v_cndmask_b32_e64 v5, v16, v18, s[46:47]                   // 00000000C2D4: D1000005 00BA2510
	v_perm_b32 v97, v5, v4, s52                                // 00000000C2DC: D1ED0061 00D20905
	v_cmp_u_f32_e64 s[46:47], v132, v132                       // 00000000C2E4: D048002E 00030984
	v_add3_u32 v16, v132, v19, 1                               // 00000000C2EC: D1FF0010 02062784
	v_cndmask_b32_e64 v4, v16, v18, s[46:47]                   // 00000000C2F4: D1000004 00BA2510
	v_cmp_u_f32_e64 s[46:47], v133, v133                       // 00000000C2FC: D048002E 00030B85
	v_add3_u32 v16, v133, v19, 1                               // 00000000C304: D1FF0010 02062785
	v_cndmask_b32_e64 v5, v16, v18, s[46:47]                   // 00000000C30C: D1000005 00BA2510
	v_perm_b32 v98, v5, v4, s52                                // 00000000C314: D1ED0062 00D20905
	v_cmp_u_f32_e64 s[46:47], v134, v134                       // 00000000C31C: D048002E 00030D86
	v_add3_u32 v16, v134, v19, 1                               // 00000000C324: D1FF0010 02062786
	v_cndmask_b32_e64 v4, v16, v18, s[46:47]                   // 00000000C32C: D1000004 00BA2510
	v_cmp_u_f32_e64 s[46:47], v135, v135                       // 00000000C334: D048002E 00030F87
	v_add3_u32 v16, v135, v19, 1                               // 00000000C33C: D1FF0010 02062787
	v_cndmask_b32_e64 v5, v16, v18, s[46:47]                   // 00000000C344: D1000005 00BA2510
	v_perm_b32 v99, v5, v4, s52                                // 00000000C34C: D1ED0063 00D20905
	v_cmp_u_f32_e64 s[46:47], v136, v136                       // 00000000C354: D048002E 00031188
	v_add3_u32 v16, v136, v19, 1                               // 00000000C35C: D1FF0010 02062788
	v_cndmask_b32_e64 v4, v16, v18, s[46:47]                   // 00000000C364: D1000004 00BA2510
	v_cmp_u_f32_e64 s[46:47], v137, v137                       // 00000000C36C: D048002E 00031389
	v_add3_u32 v16, v137, v19, 1                               // 00000000C374: D1FF0010 02062789
	v_cndmask_b32_e64 v5, v16, v18, s[46:47]                   // 00000000C37C: D1000005 00BA2510
	v_perm_b32 v100, v5, v4, s52                               // 00000000C384: D1ED0064 00D20905
	v_cmp_u_f32_e64 s[46:47], v138, v138                       // 00000000C38C: D048002E 0003158A
	v_add3_u32 v16, v138, v19, 1                               // 00000000C394: D1FF0010 0206278A
	v_cndmask_b32_e64 v4, v16, v18, s[46:47]                   // 00000000C39C: D1000004 00BA2510
	v_cmp_u_f32_e64 s[46:47], v139, v139                       // 00000000C3A4: D048002E 0003178B
	v_add3_u32 v16, v139, v19, 1                               // 00000000C3AC: D1FF0010 0206278B
	v_cndmask_b32_e64 v5, v16, v18, s[46:47]                   // 00000000C3B4: D1000005 00BA2510
	v_perm_b32 v101, v5, v4, s52                               // 00000000C3BC: D1ED0065 00D20905
	v_cmp_u_f32_e64 s[46:47], v140, v140                       // 00000000C3C4: D048002E 0003198C
	v_add3_u32 v16, v140, v19, 1                               // 00000000C3CC: D1FF0010 0206278C
	v_cndmask_b32_e64 v4, v16, v18, s[46:47]                   // 00000000C3D4: D1000004 00BA2510
	v_cmp_u_f32_e64 s[46:47], v141, v141                       // 00000000C3DC: D048002E 00031B8D
	v_add3_u32 v16, v141, v19, 1                               // 00000000C3E4: D1FF0010 0206278D
	v_cndmask_b32_e64 v5, v16, v18, s[46:47]                   // 00000000C3EC: D1000005 00BA2510
	v_perm_b32 v102, v5, v4, s52                               // 00000000C3F4: D1ED0066 00D20905
	v_cmp_u_f32_e64 s[46:47], v142, v142                       // 00000000C3FC: D048002E 00031D8E
	v_add3_u32 v16, v142, v19, 1                               // 00000000C404: D1FF0010 0206278E
	v_cndmask_b32_e64 v4, v16, v18, s[46:47]                   // 00000000C40C: D1000004 00BA2510
	v_cmp_u_f32_e64 s[46:47], v143, v143                       // 00000000C414: D048002E 00031F8F
	v_add3_u32 v16, v143, v19, 1                               // 00000000C41C: D1FF0010 0206278F
	v_cndmask_b32_e64 v5, v16, v18, s[46:47]                   // 00000000C424: D1000005 00BA2510
	v_perm_b32 v103, v5, v4, s52                               // 00000000C42C: D1ED0067 00D20905
	ds_write_b64 v20, v[64:65]                                 // 00000000C434: D89A0000 00004014
	ds_write_b64 v20, v[66:67] offset:8704                     // 00000000C43C: D89A2200 00004214
	ds_write_b64 v20, v[68:69] offset:17408                    // 00000000C444: D89A4400 00004414
	ds_write_b64 v20, v[70:71] offset:26112                    // 00000000C44C: D89A6600 00004614
	ds_write_b64 v20, v[72:73] offset:34816                    // 00000000C454: D89A8800 00004814
	ds_write_b64 v20, v[74:75] offset:2176                     // 00000000C45C: D89A0880 00004A14
	ds_write_b64 v20, v[76:77] offset:10880                    // 00000000C464: D89A2A80 00004C14
	ds_write_b64 v20, v[78:79] offset:19584                    // 00000000C46C: D89A4C80 00004E14
	ds_write_b64 v20, v[80:81] offset:28288                    // 00000000C474: D89A6E80 00005014
	ds_write_b64 v20, v[82:83] offset:36992                    // 00000000C47C: D89A9080 00005214
	ds_write_b64 v20, v[84:85] offset:4352                     // 00000000C484: D89A1100 00005414
	ds_write_b64 v20, v[86:87] offset:13056                    // 00000000C48C: D89A3300 00005614
	ds_write_b64 v20, v[88:89] offset:21760                    // 00000000C494: D89A5500 00005814
	ds_write_b64 v20, v[90:91] offset:30464                    // 00000000C49C: D89A7700 00005A14
	ds_write_b64 v20, v[92:93] offset:39168                    // 00000000C4A4: D89A9900 00005C14
	ds_write_b64 v20, v[94:95] offset:6528                     // 00000000C4AC: D89A1980 00005E14
	ds_write_b64 v20, v[96:97] offset:15232                    // 00000000C4B4: D89A3B80 00006014
	ds_write_b64 v20, v[98:99] offset:23936                    // 00000000C4BC: D89A5D80 00006214
	ds_write_b64 v20, v[100:101] offset:32640                  // 00000000C4C4: D89A7F80 00006414
	ds_write_b64 v20, v[102:103] offset:41344                  // 00000000C4CC: D89AA180 00006614
	v_lshrrev_b32_e32 v4, 5, v0                                // 00000000C4D4: 20080085
	v_xor_b32_e32 v5, 1, v4                                    // 00000000C4D8: 2A0A0881
	s_mul_i32 s60, s65, 2                                      // 00000000C4DC: 923C8241
	s_cmp_eq_u32 s88, 0                                        // 00000000C4E0: BF068058
	s_cselect_b32 s61, 1, 4                                    // 00000000C4E4: 853D8481
	s_mul_i32 s60, s61, s60                                    // 00000000C4E8: 923C3C3D
	v_readlane_b32 s82, v3, 0                                  // 00000000C4EC: D2890052 00010103
	s_lshr_b32 s61, s82, 24                                    // 00000000C4F4: 8F3D9852
	s_and_b32 s82, s82, 0xffffff                               // 00000000C4F8: 8652FF52 00FFFFFF
	s_mul_i32 s82, s82, s71                                    // 00000000C500: 92524752
	s_mul_i32 s61, s60, s61                                    // 00000000C504: 923D3D3C
	s_add_u32 s82, s82, s61                                    // 00000000C508: 80523D52
	v_mul_lo_u32 v6, v5, s82                                   // 00000000C50C: D2850006 0000A505
	v_readlane_b32 s82, v3, 1                                  // 00000000C514: D2890052 00010303
	s_lshr_b32 s61, s82, 24                                    // 00000000C51C: 8F3D9852
	s_and_b32 s82, s82, 0xffffff                               // 00000000C520: 8652FF52 00FFFFFF
	s_mul_i32 s82, s82, s71                                    // 00000000C528: 92524752
	s_mul_i32 s61, s60, s61                                    // 00000000C52C: 923D3D3C
	s_add_u32 s82, s82, s61                                    // 00000000C530: 80523D52
	v_mul_lo_u32 v7, v4, s82                                   // 00000000C534: D2850007 0000A504
	v_add_u32_e32 v48, v6, v7                                  // 00000000C53C: 68600F06
	v_readlane_b32 s82, v3, 2                                  // 00000000C540: D2890052 00010503
	s_lshr_b32 s61, s82, 24                                    // 00000000C548: 8F3D9852
	s_and_b32 s82, s82, 0xffffff                               // 00000000C54C: 8652FF52 00FFFFFF
	s_mul_i32 s82, s82, s71                                    // 00000000C554: 92524752
	s_mul_i32 s61, s60, s61                                    // 00000000C558: 923D3D3C
	s_add_u32 s82, s82, s61                                    // 00000000C55C: 80523D52
	v_mul_lo_u32 v6, v5, s82                                   // 00000000C560: D2850006 0000A505
	v_readlane_b32 s82, v3, 3                                  // 00000000C568: D2890052 00010703
	s_lshr_b32 s61, s82, 24                                    // 00000000C570: 8F3D9852
	s_and_b32 s82, s82, 0xffffff                               // 00000000C574: 8652FF52 00FFFFFF
	s_mul_i32 s82, s82, s71                                    // 00000000C57C: 92524752
	s_mul_i32 s61, s60, s61                                    // 00000000C580: 923D3D3C
	s_add_u32 s82, s82, s61                                    // 00000000C584: 80523D52
	v_mul_lo_u32 v7, v4, s82                                   // 00000000C588: D2850007 0000A504
	v_add_u32_e32 v49, v6, v7                                  // 00000000C590: 68620F06
	v_readlane_b32 s82, v3, 4                                  // 00000000C594: D2890052 00010903
	s_lshr_b32 s61, s82, 24                                    // 00000000C59C: 8F3D9852
	s_and_b32 s82, s82, 0xffffff                               // 00000000C5A0: 8652FF52 00FFFFFF
	s_mul_i32 s82, s82, s71                                    // 00000000C5A8: 92524752
	s_mul_i32 s61, s60, s61                                    // 00000000C5AC: 923D3D3C
	s_add_u32 s82, s82, s61                                    // 00000000C5B0: 80523D52
	v_mul_lo_u32 v6, v5, s82                                   // 00000000C5B4: D2850006 0000A505
	v_readlane_b32 s82, v3, 5                                  // 00000000C5BC: D2890052 00010B03
	s_lshr_b32 s61, s82, 24                                    // 00000000C5C4: 8F3D9852
	s_and_b32 s82, s82, 0xffffff                               // 00000000C5C8: 8652FF52 00FFFFFF
	s_mul_i32 s82, s82, s71                                    // 00000000C5D0: 92524752
	s_mul_i32 s61, s60, s61                                    // 00000000C5D4: 923D3D3C
	s_add_u32 s82, s82, s61                                    // 00000000C5D8: 80523D52
	v_mul_lo_u32 v7, v4, s82                                   // 00000000C5DC: D2850007 0000A504
	v_add_u32_e32 v50, v6, v7                                  // 00000000C5E4: 68640F06
	v_readlane_b32 s82, v3, 6                                  // 00000000C5E8: D2890052 00010D03
	s_lshr_b32 s61, s82, 24                                    // 00000000C5F0: 8F3D9852
	s_and_b32 s82, s82, 0xffffff                               // 00000000C5F4: 8652FF52 00FFFFFF
	s_mul_i32 s82, s82, s71                                    // 00000000C5FC: 92524752
	s_mul_i32 s61, s60, s61                                    // 00000000C600: 923D3D3C
	s_add_u32 s82, s82, s61                                    // 00000000C604: 80523D52
	v_mul_lo_u32 v6, v5, s82                                   // 00000000C608: D2850006 0000A505
	v_readlane_b32 s82, v3, 7                                  // 00000000C610: D2890052 00010F03
	s_lshr_b32 s61, s82, 24                                    // 00000000C618: 8F3D9852
	s_and_b32 s82, s82, 0xffffff                               // 00000000C61C: 8652FF52 00FFFFFF
	s_mul_i32 s82, s82, s71                                    // 00000000C624: 92524752
	s_mul_i32 s61, s60, s61                                    // 00000000C628: 923D3D3C
	s_add_u32 s82, s82, s61                                    // 00000000C62C: 80523D52
	v_mul_lo_u32 v7, v4, s82                                   // 00000000C630: D2850007 0000A504
	v_add_u32_e32 v51, v6, v7                                  // 00000000C638: 68660F06
	v_readlane_b32 s82, v3, 8                                  // 00000000C63C: D2890052 00011103
	s_lshr_b32 s61, s82, 24                                    // 00000000C644: 8F3D9852
	s_and_b32 s82, s82, 0xffffff                               // 00000000C648: 8652FF52 00FFFFFF
	s_mul_i32 s82, s82, s71                                    // 00000000C650: 92524752
	s_mul_i32 s61, s60, s61                                    // 00000000C654: 923D3D3C
	s_add_u32 s82, s82, s61                                    // 00000000C658: 80523D52
	v_mul_lo_u32 v6, v5, s82                                   // 00000000C65C: D2850006 0000A505
	v_readlane_b32 s82, v3, 9                                  // 00000000C664: D2890052 00011303
	s_lshr_b32 s61, s82, 24                                    // 00000000C66C: 8F3D9852
	s_and_b32 s82, s82, 0xffffff                               // 00000000C670: 8652FF52 00FFFFFF
	s_mul_i32 s82, s82, s71                                    // 00000000C678: 92524752
	s_mul_i32 s61, s60, s61                                    // 00000000C67C: 923D3D3C
	s_add_u32 s82, s82, s61                                    // 00000000C680: 80523D52
	v_mul_lo_u32 v7, v4, s82                                   // 00000000C684: D2850007 0000A504
	v_add_u32_e32 v52, v6, v7                                  // 00000000C68C: 68680F06
	v_readlane_b32 s82, v3, 10                                 // 00000000C690: D2890052 00011503
	s_lshr_b32 s61, s82, 24                                    // 00000000C698: 8F3D9852
	s_and_b32 s82, s82, 0xffffff                               // 00000000C69C: 8652FF52 00FFFFFF
	s_mul_i32 s82, s82, s71                                    // 00000000C6A4: 92524752
	s_mul_i32 s61, s60, s61                                    // 00000000C6A8: 923D3D3C
	s_add_u32 s82, s82, s61                                    // 00000000C6AC: 80523D52
	v_mul_lo_u32 v6, v5, s82                                   // 00000000C6B0: D2850006 0000A505
	v_readlane_b32 s82, v3, 11                                 // 00000000C6B8: D2890052 00011703
	s_lshr_b32 s61, s82, 24                                    // 00000000C6C0: 8F3D9852
	s_and_b32 s82, s82, 0xffffff                               // 00000000C6C4: 8652FF52 00FFFFFF
	s_mul_i32 s82, s82, s71                                    // 00000000C6CC: 92524752
	s_mul_i32 s61, s60, s61                                    // 00000000C6D0: 923D3D3C
	s_add_u32 s82, s82, s61                                    // 00000000C6D4: 80523D52
	v_mul_lo_u32 v7, v4, s82                                   // 00000000C6D8: D2850007 0000A504
	v_add_u32_e32 v53, v6, v7                                  // 00000000C6E0: 686A0F06
	v_readlane_b32 s82, v3, 12                                 // 00000000C6E4: D2890052 00011903
	s_lshr_b32 s61, s82, 24                                    // 00000000C6EC: 8F3D9852
	s_and_b32 s82, s82, 0xffffff                               // 00000000C6F0: 8652FF52 00FFFFFF
	s_mul_i32 s82, s82, s71                                    // 00000000C6F8: 92524752
	s_mul_i32 s61, s60, s61                                    // 00000000C6FC: 923D3D3C
	s_add_u32 s82, s82, s61                                    // 00000000C700: 80523D52
	v_mul_lo_u32 v6, v5, s82                                   // 00000000C704: D2850006 0000A505
	v_readlane_b32 s82, v3, 13                                 // 00000000C70C: D2890052 00011B03
	s_lshr_b32 s61, s82, 24                                    // 00000000C714: 8F3D9852
	s_and_b32 s82, s82, 0xffffff                               // 00000000C718: 8652FF52 00FFFFFF
	s_mul_i32 s82, s82, s71                                    // 00000000C720: 92524752
	s_mul_i32 s61, s60, s61                                    // 00000000C724: 923D3D3C
	s_add_u32 s82, s82, s61                                    // 00000000C728: 80523D52
	v_mul_lo_u32 v7, v4, s82                                   // 00000000C72C: D2850007 0000A504
	v_add_u32_e32 v54, v6, v7                                  // 00000000C734: 686C0F06
	v_readlane_b32 s82, v3, 14                                 // 00000000C738: D2890052 00011D03
	s_lshr_b32 s61, s82, 24                                    // 00000000C740: 8F3D9852
	s_and_b32 s82, s82, 0xffffff                               // 00000000C744: 8652FF52 00FFFFFF
	s_mul_i32 s82, s82, s71                                    // 00000000C74C: 92524752
	s_mul_i32 s61, s60, s61                                    // 00000000C750: 923D3D3C
	s_add_u32 s82, s82, s61                                    // 00000000C754: 80523D52
	v_mul_lo_u32 v6, v5, s82                                   // 00000000C758: D2850006 0000A505
	v_readlane_b32 s82, v3, 15                                 // 00000000C760: D2890052 00011F03
	s_lshr_b32 s61, s82, 24                                    // 00000000C768: 8F3D9852
	s_and_b32 s82, s82, 0xffffff                               // 00000000C76C: 8652FF52 00FFFFFF
	s_mul_i32 s82, s82, s71                                    // 00000000C774: 92524752
	s_mul_i32 s61, s60, s61                                    // 00000000C778: 923D3D3C
	s_add_u32 s82, s82, s61                                    // 00000000C77C: 80523D52
	v_mul_lo_u32 v7, v4, s82                                   // 00000000C780: D2850007 0000A504
	v_add_u32_e32 v55, v6, v7                                  // 00000000C788: 686E0F06
	v_readlane_b32 s82, v3, 16                                 // 00000000C78C: D2890052 00012103
	s_lshr_b32 s61, s82, 24                                    // 00000000C794: 8F3D9852
	s_and_b32 s82, s82, 0xffffff                               // 00000000C798: 8652FF52 00FFFFFF
	s_mul_i32 s82, s82, s71                                    // 00000000C7A0: 92524752
	s_mul_i32 s61, s60, s61                                    // 00000000C7A4: 923D3D3C
	s_add_u32 s82, s82, s61                                    // 00000000C7A8: 80523D52
	v_mul_lo_u32 v6, v5, s82                                   // 00000000C7AC: D2850006 0000A505
	v_readlane_b32 s82, v3, 17                                 // 00000000C7B4: D2890052 00012303
	s_lshr_b32 s61, s82, 24                                    // 00000000C7BC: 8F3D9852
	s_and_b32 s82, s82, 0xffffff                               // 00000000C7C0: 8652FF52 00FFFFFF
	s_mul_i32 s82, s82, s71                                    // 00000000C7C8: 92524752
	s_mul_i32 s61, s60, s61                                    // 00000000C7CC: 923D3D3C
	s_add_u32 s82, s82, s61                                    // 00000000C7D0: 80523D52
	v_mul_lo_u32 v7, v4, s82                                   // 00000000C7D4: D2850007 0000A504
	v_add_u32_e32 v56, v6, v7                                  // 00000000C7DC: 68700F06
	v_readlane_b32 s82, v3, 18                                 // 00000000C7E0: D2890052 00012503
	s_lshr_b32 s61, s82, 24                                    // 00000000C7E8: 8F3D9852
	s_and_b32 s82, s82, 0xffffff                               // 00000000C7EC: 8652FF52 00FFFFFF
	s_mul_i32 s82, s82, s71                                    // 00000000C7F4: 92524752
	s_mul_i32 s61, s60, s61                                    // 00000000C7F8: 923D3D3C
	s_add_u32 s82, s82, s61                                    // 00000000C7FC: 80523D52
	v_mul_lo_u32 v6, v5, s82                                   // 00000000C800: D2850006 0000A505
	v_readlane_b32 s82, v3, 19                                 // 00000000C808: D2890052 00012703
	s_lshr_b32 s61, s82, 24                                    // 00000000C810: 8F3D9852
	s_and_b32 s82, s82, 0xffffff                               // 00000000C814: 8652FF52 00FFFFFF
	s_mul_i32 s82, s82, s71                                    // 00000000C81C: 92524752
	s_mul_i32 s61, s60, s61                                    // 00000000C820: 923D3D3C
	s_add_u32 s82, s82, s61                                    // 00000000C824: 80523D52
	v_mul_lo_u32 v7, v4, s82                                   // 00000000C828: D2850007 0000A504
	v_add_u32_e32 v57, v6, v7                                  // 00000000C830: 68720F06
	v_and_b32_e32 v4, 31, v0                                   // 00000000C834: 2608009F
	v_lshrrev_b32_e32 v4, 1, v4                                // 00000000C838: 20080881
	s_cmp_eq_u32 s88, 0                                        // 00000000C83C: BF068058
	s_cselect_b32 s61, 2, 4                                    // 00000000C840: 853D8482
	v_mul_lo_u32 v4, v4, s61                                   // 00000000C844: D2850004 00007B04
	v_and_b32_e64 v5, v0, 1                                    // 00000000C84C: D1130005 00010300
	v_add_u32_e32 v4, v4, v5                                   // 00000000C854: 68080B04
	v_lshlrev_b32_e32 v4, 2, v4                                // 00000000C858: 24080882
	v_add_u32_e32 v48, v48, v4                                 // 00000000C85C: 68600930
	v_add_u32_e32 v49, v49, v4                                 // 00000000C860: 68620931
	v_add_u32_e32 v50, v50, v4                                 // 00000000C864: 68640932
	v_add_u32_e32 v51, v51, v4                                 // 00000000C868: 68660933
	v_add_u32_e32 v52, v52, v4                                 // 00000000C86C: 68680934
	v_add_u32_e32 v53, v53, v4                                 // 00000000C870: 686A0935
	v_add_u32_e32 v54, v54, v4                                 // 00000000C874: 686C0936
	v_add_u32_e32 v55, v55, v4                                 // 00000000C878: 686E0937
	v_add_u32_e32 v56, v56, v4                                 // 00000000C87C: 68700938
	v_add_u32_e32 v57, v57, v4                                 // 00000000C880: 68720939
	s_waitcnt lgkmcnt(0)                                       // 00000000C884: BF8CC07F
	s_barrier                                                  // 00000000C888: BF8A0000
	ds_read_b32 v64, v21                                       // 00000000C88C: D86C0000 40000015
	ds_read_b32 v65, v21 offset:64                             // 00000000C894: D86C0040 41000015
	ds_read_b32 v66, v21 offset:2176                           // 00000000C89C: D86C0880 42000015
	ds_read_b32 v67, v21 offset:2240                           // 00000000C8A4: D86C08C0 43000015
	ds_read_b32 v68, v21 offset:4352                           // 00000000C8AC: D86C1100 44000015
	ds_read_b32 v69, v21 offset:4416                           // 00000000C8B4: D86C1140 45000015
	ds_read_b32 v70, v21 offset:6528                           // 00000000C8BC: D86C1980 46000015
	ds_read_b32 v71, v21 offset:6592                           // 00000000C8C4: D86C19C0 47000015
	ds_read_b32 v72, v21 offset:8704                           // 00000000C8CC: D86C2200 48000015
	ds_read_b32 v73, v21 offset:8768                           // 00000000C8D4: D86C2240 49000015
	ds_read_b32 v74, v21 offset:10880                          // 00000000C8DC: D86C2A80 4A000015
	ds_read_b32 v75, v21 offset:10944                          // 00000000C8E4: D86C2AC0 4B000015
	ds_read_b32 v76, v21 offset:13056                          // 00000000C8EC: D86C3300 4C000015
	ds_read_b32 v77, v21 offset:13120                          // 00000000C8F4: D86C3340 4D000015
	ds_read_b32 v78, v21 offset:15232                          // 00000000C8FC: D86C3B80 4E000015
	ds_read_b32 v79, v21 offset:15296                          // 00000000C904: D86C3BC0 4F000015
	ds_read_b32 v80, v21 offset:17408                          // 00000000C90C: D86C4400 50000015
	ds_read_b32 v81, v21 offset:17472                          // 00000000C914: D86C4440 51000015
	ds_read_b32 v82, v21 offset:19584                          // 00000000C91C: D86C4C80 52000015
	ds_read_b32 v83, v21 offset:19648                          // 00000000C924: D86C4CC0 53000015
	ds_read_b32 v84, v21 offset:21760                          // 00000000C92C: D86C5500 54000015
	ds_read_b32 v85, v21 offset:21824                          // 00000000C934: D86C5540 55000015
	ds_read_b32 v86, v21 offset:23936                          // 00000000C93C: D86C5D80 56000015
	ds_read_b32 v87, v21 offset:24000                          // 00000000C944: D86C5DC0 57000015
	ds_read_b32 v88, v21 offset:26112                          // 00000000C94C: D86C6600 58000015
	ds_read_b32 v89, v21 offset:26176                          // 00000000C954: D86C6640 59000015
	ds_read_b32 v90, v21 offset:28288                          // 00000000C95C: D86C6E80 5A000015
	ds_read_b32 v91, v21 offset:28352                          // 00000000C964: D86C6EC0 5B000015
	ds_read_b32 v92, v21 offset:30464                          // 00000000C96C: D86C7700 5C000015
	ds_read_b32 v93, v21 offset:30528                          // 00000000C974: D86C7740 5D000015
	ds_read_b32 v94, v21 offset:32640                          // 00000000C97C: D86C7F80 5E000015
	ds_read_b32 v95, v21 offset:32704                          // 00000000C984: D86C7FC0 5F000015
	ds_read_b32 v96, v21 offset:34816                          // 00000000C98C: D86C8800 60000015
	ds_read_b32 v97, v21 offset:34880                          // 00000000C994: D86C8840 61000015
	ds_read_b32 v98, v21 offset:36992                          // 00000000C99C: D86C9080 62000015
	ds_read_b32 v99, v21 offset:37056                          // 00000000C9A4: D86C90C0 63000015
	ds_read_b32 v100, v21 offset:39168                         // 00000000C9AC: D86C9900 64000015
	ds_read_b32 v101, v21 offset:39232                         // 00000000C9B4: D86C9940 65000015
	ds_read_b32 v102, v21 offset:41344                         // 00000000C9BC: D86CA180 66000015
	ds_read_b32 v103, v21 offset:41408                         // 00000000C9C4: D86CA1C0 67000015
	s_waitcnt lgkmcnt(0)                                       // 00000000C9CC: BF8CC07F
	s_mov_b32 s36, -1                                          // 00000000C9D0: BEA400C1
	s_mov_b32 s37, -1                                          // 00000000C9D4: BEA500C1
	v_mov_b32_e32 v7, 0                                        // 00000000C9D8: 7E0E0280
	s_or_b32 s9, s9, 0x40000                                   // 00000000C9DC: 8709FF09 00040000
	s_mov_b64 exec, s[36:37]                                   // 00000000C9E4: BEFE0124
	v_mov_b32_e32 v6, v48                                      // 00000000C9E8: 7E0C0330
	s_mov_b64 s[60:61], 0                                      // 00000000C9EC: BEBC0180
	v_readlane_b32 s82, v3, 0                                  // 00000000C9F0: D2890052 00010103
	s_and_b32 s82, s82, 0xffffff                               // 00000000C9F8: 8652FF52 00FFFFFF
	s_cmp_lt_u32 s82, s66                                      // 00000000CA00: BF0A4252
	s_cselect_b32 s20, s36, s60                                // 00000000CA04: 85143C24
	v_readlane_b32 s82, v3, 1                                  // 00000000CA08: D2890052 00010303
	s_and_b32 s82, s82, 0xffffff                               // 00000000CA10: 8652FF52 00FFFFFF
	s_cmp_lt_u32 s82, s66                                      // 00000000CA18: BF0A4252
	s_cselect_b32 s21, s36, s60                                // 00000000CA1C: 85153C24
	s_mov_b64 exec, s[20:21]                                   // 00000000CA20: BEFE0114
	buffer_store_dword v64, v6, s[8:11], 0 offen               // 00000000CA24: E0701000 80024006
	buffer_store_dword v66, v6, s[8:11], 0 offen offset:128    // 00000000CA2C: E0701080 80024206
	buffer_store_dword v68, v6, s[8:11], 0 offen offset:256    // 00000000CA34: E0701100 80024406
	buffer_store_dword v70, v6, s[8:11], 0 offen offset:384    // 00000000CA3C: E0701180 80024606
	s_mov_b64 exec, s[36:37]                                   // 00000000CA44: BEFE0124
	v_mov_b32_e32 v6, v49                                      // 00000000CA48: 7E0C0331
	s_mov_b64 s[60:61], 0                                      // 00000000CA4C: BEBC0180
	v_readlane_b32 s82, v3, 2                                  // 00000000CA50: D2890052 00010503
	s_and_b32 s82, s82, 0xffffff                               // 00000000CA58: 8652FF52 00FFFFFF
	s_cmp_lt_u32 s82, s66                                      // 00000000CA60: BF0A4252
	s_cselect_b32 s20, s36, s60                                // 00000000CA64: 85143C24
	v_readlane_b32 s82, v3, 3                                  // 00000000CA68: D2890052 00010703
	s_and_b32 s82, s82, 0xffffff                               // 00000000CA70: 8652FF52 00FFFFFF
	s_cmp_lt_u32 s82, s66                                      // 00000000CA78: BF0A4252
	s_cselect_b32 s21, s36, s60                                // 00000000CA7C: 85153C24
	s_mov_b64 exec, s[20:21]                                   // 00000000CA80: BEFE0114
	buffer_store_dword v65, v6, s[8:11], 0 offen               // 00000000CA84: E0701000 80024106
	buffer_store_dword v67, v6, s[8:11], 0 offen offset:128    // 00000000CA8C: E0701080 80024306
	buffer_store_dword v69, v6, s[8:11], 0 offen offset:256    // 00000000CA94: E0701100 80024506
	buffer_store_dword v71, v6, s[8:11], 0 offen offset:384    // 00000000CA9C: E0701180 80024706
	s_mov_b64 exec, s[36:37]                                   // 00000000CAA4: BEFE0124
	v_mov_b32_e32 v6, v50                                      // 00000000CAA8: 7E0C0332
	s_mov_b64 s[60:61], 0                                      // 00000000CAAC: BEBC0180
	v_readlane_b32 s82, v3, 4                                  // 00000000CAB0: D2890052 00010903
	s_and_b32 s82, s82, 0xffffff                               // 00000000CAB8: 8652FF52 00FFFFFF
	s_cmp_lt_u32 s82, s66                                      // 00000000CAC0: BF0A4252
	s_cselect_b32 s20, s36, s60                                // 00000000CAC4: 85143C24
	v_readlane_b32 s82, v3, 5                                  // 00000000CAC8: D2890052 00010B03
	s_and_b32 s82, s82, 0xffffff                               // 00000000CAD0: 8652FF52 00FFFFFF
	s_cmp_lt_u32 s82, s66                                      // 00000000CAD8: BF0A4252
	s_cselect_b32 s21, s36, s60                                // 00000000CADC: 85153C24
	s_mov_b64 exec, s[20:21]                                   // 00000000CAE0: BEFE0114
	buffer_store_dword v72, v6, s[8:11], 0 offen               // 00000000CAE4: E0701000 80024806
	buffer_store_dword v74, v6, s[8:11], 0 offen offset:128    // 00000000CAEC: E0701080 80024A06
	buffer_store_dword v76, v6, s[8:11], 0 offen offset:256    // 00000000CAF4: E0701100 80024C06
	buffer_store_dword v78, v6, s[8:11], 0 offen offset:384    // 00000000CAFC: E0701180 80024E06
	s_mov_b64 exec, s[36:37]                                   // 00000000CB04: BEFE0124
	v_mov_b32_e32 v6, v51                                      // 00000000CB08: 7E0C0333
	s_mov_b64 s[60:61], 0                                      // 00000000CB0C: BEBC0180
	v_readlane_b32 s82, v3, 6                                  // 00000000CB10: D2890052 00010D03
	s_and_b32 s82, s82, 0xffffff                               // 00000000CB18: 8652FF52 00FFFFFF
	s_cmp_lt_u32 s82, s66                                      // 00000000CB20: BF0A4252
	s_cselect_b32 s20, s36, s60                                // 00000000CB24: 85143C24
	v_readlane_b32 s82, v3, 7                                  // 00000000CB28: D2890052 00010F03
	s_and_b32 s82, s82, 0xffffff                               // 00000000CB30: 8652FF52 00FFFFFF
	s_cmp_lt_u32 s82, s66                                      // 00000000CB38: BF0A4252
	s_cselect_b32 s21, s36, s60                                // 00000000CB3C: 85153C24
	s_mov_b64 exec, s[20:21]                                   // 00000000CB40: BEFE0114
	buffer_store_dword v73, v6, s[8:11], 0 offen               // 00000000CB44: E0701000 80024906
	buffer_store_dword v75, v6, s[8:11], 0 offen offset:128    // 00000000CB4C: E0701080 80024B06
	buffer_store_dword v77, v6, s[8:11], 0 offen offset:256    // 00000000CB54: E0701100 80024D06
	buffer_store_dword v79, v6, s[8:11], 0 offen offset:384    // 00000000CB5C: E0701180 80024F06
	s_mov_b64 exec, s[36:37]                                   // 00000000CB64: BEFE0124
	v_mov_b32_e32 v6, v52                                      // 00000000CB68: 7E0C0334
	s_mov_b64 s[60:61], 0                                      // 00000000CB6C: BEBC0180
	v_readlane_b32 s82, v3, 8                                  // 00000000CB70: D2890052 00011103
	s_and_b32 s82, s82, 0xffffff                               // 00000000CB78: 8652FF52 00FFFFFF
	s_cmp_lt_u32 s82, s66                                      // 00000000CB80: BF0A4252
	s_cselect_b32 s20, s36, s60                                // 00000000CB84: 85143C24
	v_readlane_b32 s82, v3, 9                                  // 00000000CB88: D2890052 00011303
	s_and_b32 s82, s82, 0xffffff                               // 00000000CB90: 8652FF52 00FFFFFF
	s_cmp_lt_u32 s82, s66                                      // 00000000CB98: BF0A4252
	s_cselect_b32 s21, s36, s60                                // 00000000CB9C: 85153C24
	s_mov_b64 exec, s[20:21]                                   // 00000000CBA0: BEFE0114
	buffer_store_dword v80, v6, s[8:11], 0 offen               // 00000000CBA4: E0701000 80025006
	buffer_store_dword v82, v6, s[8:11], 0 offen offset:128    // 00000000CBAC: E0701080 80025206
	buffer_store_dword v84, v6, s[8:11], 0 offen offset:256    // 00000000CBB4: E0701100 80025406
	buffer_store_dword v86, v6, s[8:11], 0 offen offset:384    // 00000000CBBC: E0701180 80025606
	s_mov_b64 exec, s[36:37]                                   // 00000000CBC4: BEFE0124
	v_mov_b32_e32 v6, v53                                      // 00000000CBC8: 7E0C0335
	s_mov_b64 s[60:61], 0                                      // 00000000CBCC: BEBC0180
	v_readlane_b32 s82, v3, 10                                 // 00000000CBD0: D2890052 00011503
	s_and_b32 s82, s82, 0xffffff                               // 00000000CBD8: 8652FF52 00FFFFFF
	s_cmp_lt_u32 s82, s66                                      // 00000000CBE0: BF0A4252
	s_cselect_b32 s20, s36, s60                                // 00000000CBE4: 85143C24
	v_readlane_b32 s82, v3, 11                                 // 00000000CBE8: D2890052 00011703
	s_and_b32 s82, s82, 0xffffff                               // 00000000CBF0: 8652FF52 00FFFFFF
	s_cmp_lt_u32 s82, s66                                      // 00000000CBF8: BF0A4252
	s_cselect_b32 s21, s36, s60                                // 00000000CBFC: 85153C24
	s_mov_b64 exec, s[20:21]                                   // 00000000CC00: BEFE0114
	buffer_store_dword v81, v6, s[8:11], 0 offen               // 00000000CC04: E0701000 80025106
	buffer_store_dword v83, v6, s[8:11], 0 offen offset:128    // 00000000CC0C: E0701080 80025306
	buffer_store_dword v85, v6, s[8:11], 0 offen offset:256    // 00000000CC14: E0701100 80025506
	buffer_store_dword v87, v6, s[8:11], 0 offen offset:384    // 00000000CC1C: E0701180 80025706
	s_mov_b64 exec, s[36:37]                                   // 00000000CC24: BEFE0124
	v_mov_b32_e32 v6, v54                                      // 00000000CC28: 7E0C0336
	s_mov_b64 s[60:61], 0                                      // 00000000CC2C: BEBC0180
	v_readlane_b32 s82, v3, 12                                 // 00000000CC30: D2890052 00011903
	s_and_b32 s82, s82, 0xffffff                               // 00000000CC38: 8652FF52 00FFFFFF
	s_cmp_lt_u32 s82, s66                                      // 00000000CC40: BF0A4252
	s_cselect_b32 s20, s36, s60                                // 00000000CC44: 85143C24
	v_readlane_b32 s82, v3, 13                                 // 00000000CC48: D2890052 00011B03
	s_and_b32 s82, s82, 0xffffff                               // 00000000CC50: 8652FF52 00FFFFFF
	s_cmp_lt_u32 s82, s66                                      // 00000000CC58: BF0A4252
	s_cselect_b32 s21, s36, s60                                // 00000000CC5C: 85153C24
	s_mov_b64 exec, s[20:21]                                   // 00000000CC60: BEFE0114
	buffer_store_dword v88, v6, s[8:11], 0 offen               // 00000000CC64: E0701000 80025806
	buffer_store_dword v90, v6, s[8:11], 0 offen offset:128    // 00000000CC6C: E0701080 80025A06
	buffer_store_dword v92, v6, s[8:11], 0 offen offset:256    // 00000000CC74: E0701100 80025C06
	buffer_store_dword v94, v6, s[8:11], 0 offen offset:384    // 00000000CC7C: E0701180 80025E06
	s_mov_b64 exec, s[36:37]                                   // 00000000CC84: BEFE0124
	v_mov_b32_e32 v6, v55                                      // 00000000CC88: 7E0C0337
	s_mov_b64 s[60:61], 0                                      // 00000000CC8C: BEBC0180
	v_readlane_b32 s82, v3, 14                                 // 00000000CC90: D2890052 00011D03
	s_and_b32 s82, s82, 0xffffff                               // 00000000CC98: 8652FF52 00FFFFFF
	s_cmp_lt_u32 s82, s66                                      // 00000000CCA0: BF0A4252
	s_cselect_b32 s20, s36, s60                                // 00000000CCA4: 85143C24
	v_readlane_b32 s82, v3, 15                                 // 00000000CCA8: D2890052 00011F03
	s_and_b32 s82, s82, 0xffffff                               // 00000000CCB0: 8652FF52 00FFFFFF
	s_cmp_lt_u32 s82, s66                                      // 00000000CCB8: BF0A4252
	s_cselect_b32 s21, s36, s60                                // 00000000CCBC: 85153C24
	s_mov_b64 exec, s[20:21]                                   // 00000000CCC0: BEFE0114
	buffer_store_dword v89, v6, s[8:11], 0 offen               // 00000000CCC4: E0701000 80025906
	buffer_store_dword v91, v6, s[8:11], 0 offen offset:128    // 00000000CCCC: E0701080 80025B06
	buffer_store_dword v93, v6, s[8:11], 0 offen offset:256    // 00000000CCD4: E0701100 80025D06
	buffer_store_dword v95, v6, s[8:11], 0 offen offset:384    // 00000000CCDC: E0701180 80025F06
	s_mov_b64 exec, s[36:37]                                   // 00000000CCE4: BEFE0124
	v_mov_b32_e32 v6, v56                                      // 00000000CCE8: 7E0C0338
	s_mov_b64 s[60:61], 0                                      // 00000000CCEC: BEBC0180
	v_readlane_b32 s82, v3, 16                                 // 00000000CCF0: D2890052 00012103
	s_and_b32 s82, s82, 0xffffff                               // 00000000CCF8: 8652FF52 00FFFFFF
	s_cmp_lt_u32 s82, s66                                      // 00000000CD00: BF0A4252
	s_cselect_b32 s20, s36, s60                                // 00000000CD04: 85143C24
	v_readlane_b32 s82, v3, 17                                 // 00000000CD08: D2890052 00012303
	s_and_b32 s82, s82, 0xffffff                               // 00000000CD10: 8652FF52 00FFFFFF
	s_cmp_lt_u32 s82, s66                                      // 00000000CD18: BF0A4252
	s_cselect_b32 s21, s36, s60                                // 00000000CD1C: 85153C24
	s_mov_b64 exec, s[20:21]                                   // 00000000CD20: BEFE0114
	buffer_store_dword v96, v6, s[8:11], 0 offen               // 00000000CD24: E0701000 80026006
	buffer_store_dword v98, v6, s[8:11], 0 offen offset:128    // 00000000CD2C: E0701080 80026206
	buffer_store_dword v100, v6, s[8:11], 0 offen offset:256   // 00000000CD34: E0701100 80026406
	buffer_store_dword v102, v6, s[8:11], 0 offen offset:384   // 00000000CD3C: E0701180 80026606
	s_mov_b64 exec, s[36:37]                                   // 00000000CD44: BEFE0124
	v_mov_b32_e32 v6, v57                                      // 00000000CD48: 7E0C0339
	s_mov_b64 s[60:61], 0                                      // 00000000CD4C: BEBC0180
	v_readlane_b32 s82, v3, 18                                 // 00000000CD50: D2890052 00012503
	s_and_b32 s82, s82, 0xffffff                               // 00000000CD58: 8652FF52 00FFFFFF
	s_cmp_lt_u32 s82, s66                                      // 00000000CD60: BF0A4252
	s_cselect_b32 s20, s36, s60                                // 00000000CD64: 85143C24
	v_readlane_b32 s82, v3, 19                                 // 00000000CD68: D2890052 00012703
	s_and_b32 s82, s82, 0xffffff                               // 00000000CD70: 8652FF52 00FFFFFF
	s_cmp_lt_u32 s82, s66                                      // 00000000CD78: BF0A4252
	s_cselect_b32 s21, s36, s60                                // 00000000CD7C: 85153C24
	s_mov_b64 exec, s[20:21]                                   // 00000000CD80: BEFE0114
	buffer_store_dword v97, v6, s[8:11], 0 offen               // 00000000CD84: E0701000 80026106
	buffer_store_dword v99, v6, s[8:11], 0 offen offset:128    // 00000000CD8C: E0701080 80026306
	buffer_store_dword v101, v6, s[8:11], 0 offen offset:256   // 00000000CD94: E0701100 80026506
	buffer_store_dword v103, v6, s[8:11], 0 offen offset:384   // 00000000CD9C: E0701180 80026706
	s_mov_b64 exec, s[36:37]                                   // 00000000CDA4: BEFE0124
	s_branch label_2F94                                        // 00000000CDA8: BF8206A6

000000000000cdac <label_28EE>:
	ds_write_b64 v20, v[64:65]                                 // 00000000CDAC: D89A0000 00004014
	ds_write_b64 v20, v[68:69] offset:8704                     // 00000000CDB4: D89A2200 00004414
	ds_write_b64 v20, v[72:73] offset:17408                    // 00000000CDBC: D89A4400 00004814
	ds_write_b64 v20, v[76:77] offset:26112                    // 00000000CDC4: D89A6600 00004C14
	ds_write_b64 v20, v[80:81] offset:34816                    // 00000000CDCC: D89A8800 00005014
	ds_write_b64 v20, v[84:85] offset:2176                     // 00000000CDD4: D89A0880 00005414
	ds_write_b64 v20, v[88:89] offset:10880                    // 00000000CDDC: D89A2A80 00005814
	ds_write_b64 v20, v[92:93] offset:19584                    // 00000000CDE4: D89A4C80 00005C14
	ds_write_b64 v20, v[96:97] offset:28288                    // 00000000CDEC: D89A6E80 00006014
	ds_write_b64 v20, v[100:101] offset:36992                  // 00000000CDF4: D89A9080 00006414
	ds_write_b64 v20, v[104:105] offset:4352                   // 00000000CDFC: D89A1100 00006814
	ds_write_b64 v20, v[108:109] offset:13056                  // 00000000CE04: D89A3300 00006C14
	ds_write_b64 v20, v[112:113] offset:21760                  // 00000000CE0C: D89A5500 00007014
	ds_write_b64 v20, v[116:117] offset:30464                  // 00000000CE14: D89A7700 00007414
	ds_write_b64 v20, v[120:121] offset:39168                  // 00000000CE1C: D89A9900 00007814
	ds_write_b64 v20, v[124:125] offset:6528                   // 00000000CE24: D89A1980 00007C14
	ds_write_b64 v20, v[128:129] offset:15232                  // 00000000CE2C: D89A3B80 00008014
	ds_write_b64 v20, v[132:133] offset:23936                  // 00000000CE34: D89A5D80 00008414
	ds_write_b64 v20, v[136:137] offset:32640                  // 00000000CE3C: D89A7F80 00008814
	ds_write_b64 v20, v[140:141] offset:41344                  // 00000000CE44: D89AA180 00008C14
	v_lshrrev_b32_e32 v4, 5, v0                                // 00000000CE4C: 20080085
	v_xor_b32_e32 v5, 1, v4                                    // 00000000CE50: 2A0A0881
	s_mul_i32 s60, s65, 2                                      // 00000000CE54: 923C8241
	s_cmp_eq_u32 s88, 0                                        // 00000000CE58: BF068058
	s_cselect_b32 s61, 1, 4                                    // 00000000CE5C: 853D8481
	s_mul_i32 s60, s61, s60                                    // 00000000CE60: 923C3C3D
	v_readlane_b32 s82, v3, 0                                  // 00000000CE64: D2890052 00010103
	s_lshr_b32 s61, s82, 24                                    // 00000000CE6C: 8F3D9852
	s_and_b32 s82, s82, 0xffffff                               // 00000000CE70: 8652FF52 00FFFFFF
	s_mul_i32 s82, s82, s71                                    // 00000000CE78: 92524752
	s_mul_i32 s61, s60, s61                                    // 00000000CE7C: 923D3D3C
	s_add_u32 s82, s82, s61                                    // 00000000CE80: 80523D52
	v_mul_lo_u32 v6, v5, s82                                   // 00000000CE84: D2850006 0000A505
	v_readlane_b32 s82, v3, 1                                  // 00000000CE8C: D2890052 00010303
	s_lshr_b32 s61, s82, 24                                    // 00000000CE94: 8F3D9852
	s_and_b32 s82, s82, 0xffffff                               // 00000000CE98: 8652FF52 00FFFFFF
	s_mul_i32 s82, s82, s71                                    // 00000000CEA0: 92524752
	s_mul_i32 s61, s60, s61                                    // 00000000CEA4: 923D3D3C
	s_add_u32 s82, s82, s61                                    // 00000000CEA8: 80523D52
	v_mul_lo_u32 v7, v4, s82                                   // 00000000CEAC: D2850007 0000A504
	v_add_u32_e32 v48, v6, v7                                  // 00000000CEB4: 68600F06
	v_readlane_b32 s82, v3, 2                                  // 00000000CEB8: D2890052 00010503
	s_lshr_b32 s61, s82, 24                                    // 00000000CEC0: 8F3D9852
	s_and_b32 s82, s82, 0xffffff                               // 00000000CEC4: 8652FF52 00FFFFFF
	s_mul_i32 s82, s82, s71                                    // 00000000CECC: 92524752
	s_mul_i32 s61, s60, s61                                    // 00000000CED0: 923D3D3C
	s_add_u32 s82, s82, s61                                    // 00000000CED4: 80523D52
	v_mul_lo_u32 v6, v5, s82                                   // 00000000CED8: D2850006 0000A505
	v_readlane_b32 s82, v3, 3                                  // 00000000CEE0: D2890052 00010703
	s_lshr_b32 s61, s82, 24                                    // 00000000CEE8: 8F3D9852
	s_and_b32 s82, s82, 0xffffff                               // 00000000CEEC: 8652FF52 00FFFFFF
	s_mul_i32 s82, s82, s71                                    // 00000000CEF4: 92524752
	s_mul_i32 s61, s60, s61                                    // 00000000CEF8: 923D3D3C
	s_add_u32 s82, s82, s61                                    // 00000000CEFC: 80523D52
	v_mul_lo_u32 v7, v4, s82                                   // 00000000CF00: D2850007 0000A504
	v_add_u32_e32 v49, v6, v7                                  // 00000000CF08: 68620F06
	v_readlane_b32 s82, v3, 4                                  // 00000000CF0C: D2890052 00010903
	s_lshr_b32 s61, s82, 24                                    // 00000000CF14: 8F3D9852
	s_and_b32 s82, s82, 0xffffff                               // 00000000CF18: 8652FF52 00FFFFFF
	s_mul_i32 s82, s82, s71                                    // 00000000CF20: 92524752
	s_mul_i32 s61, s60, s61                                    // 00000000CF24: 923D3D3C
	s_add_u32 s82, s82, s61                                    // 00000000CF28: 80523D52
	v_mul_lo_u32 v6, v5, s82                                   // 00000000CF2C: D2850006 0000A505
	v_readlane_b32 s82, v3, 5                                  // 00000000CF34: D2890052 00010B03
	s_lshr_b32 s61, s82, 24                                    // 00000000CF3C: 8F3D9852
	s_and_b32 s82, s82, 0xffffff                               // 00000000CF40: 8652FF52 00FFFFFF
	s_mul_i32 s82, s82, s71                                    // 00000000CF48: 92524752
	s_mul_i32 s61, s60, s61                                    // 00000000CF4C: 923D3D3C
	s_add_u32 s82, s82, s61                                    // 00000000CF50: 80523D52
	v_mul_lo_u32 v7, v4, s82                                   // 00000000CF54: D2850007 0000A504
	v_add_u32_e32 v50, v6, v7                                  // 00000000CF5C: 68640F06
	v_readlane_b32 s82, v3, 6                                  // 00000000CF60: D2890052 00010D03
	s_lshr_b32 s61, s82, 24                                    // 00000000CF68: 8F3D9852
	s_and_b32 s82, s82, 0xffffff                               // 00000000CF6C: 8652FF52 00FFFFFF
	s_mul_i32 s82, s82, s71                                    // 00000000CF74: 92524752
	s_mul_i32 s61, s60, s61                                    // 00000000CF78: 923D3D3C
	s_add_u32 s82, s82, s61                                    // 00000000CF7C: 80523D52
	v_mul_lo_u32 v6, v5, s82                                   // 00000000CF80: D2850006 0000A505
	v_readlane_b32 s82, v3, 7                                  // 00000000CF88: D2890052 00010F03
	s_lshr_b32 s61, s82, 24                                    // 00000000CF90: 8F3D9852
	s_and_b32 s82, s82, 0xffffff                               // 00000000CF94: 8652FF52 00FFFFFF
	s_mul_i32 s82, s82, s71                                    // 00000000CF9C: 92524752
	s_mul_i32 s61, s60, s61                                    // 00000000CFA0: 923D3D3C
	s_add_u32 s82, s82, s61                                    // 00000000CFA4: 80523D52
	v_mul_lo_u32 v7, v4, s82                                   // 00000000CFA8: D2850007 0000A504
	v_add_u32_e32 v51, v6, v7                                  // 00000000CFB0: 68660F06
	v_readlane_b32 s82, v3, 8                                  // 00000000CFB4: D2890052 00011103
	s_lshr_b32 s61, s82, 24                                    // 00000000CFBC: 8F3D9852
	s_and_b32 s82, s82, 0xffffff                               // 00000000CFC0: 8652FF52 00FFFFFF
	s_mul_i32 s82, s82, s71                                    // 00000000CFC8: 92524752
	s_mul_i32 s61, s60, s61                                    // 00000000CFCC: 923D3D3C
	s_add_u32 s82, s82, s61                                    // 00000000CFD0: 80523D52
	v_mul_lo_u32 v6, v5, s82                                   // 00000000CFD4: D2850006 0000A505
	v_readlane_b32 s82, v3, 9                                  // 00000000CFDC: D2890052 00011303
	s_lshr_b32 s61, s82, 24                                    // 00000000CFE4: 8F3D9852
	s_and_b32 s82, s82, 0xffffff                               // 00000000CFE8: 8652FF52 00FFFFFF
	s_mul_i32 s82, s82, s71                                    // 00000000CFF0: 92524752
	s_mul_i32 s61, s60, s61                                    // 00000000CFF4: 923D3D3C
	s_add_u32 s82, s82, s61                                    // 00000000CFF8: 80523D52
	v_mul_lo_u32 v7, v4, s82                                   // 00000000CFFC: D2850007 0000A504
	v_add_u32_e32 v52, v6, v7                                  // 00000000D004: 68680F06
	v_readlane_b32 s82, v3, 10                                 // 00000000D008: D2890052 00011503
	s_lshr_b32 s61, s82, 24                                    // 00000000D010: 8F3D9852
	s_and_b32 s82, s82, 0xffffff                               // 00000000D014: 8652FF52 00FFFFFF
	s_mul_i32 s82, s82, s71                                    // 00000000D01C: 92524752
	s_mul_i32 s61, s60, s61                                    // 00000000D020: 923D3D3C
	s_add_u32 s82, s82, s61                                    // 00000000D024: 80523D52
	v_mul_lo_u32 v6, v5, s82                                   // 00000000D028: D2850006 0000A505
	v_readlane_b32 s82, v3, 11                                 // 00000000D030: D2890052 00011703
	s_lshr_b32 s61, s82, 24                                    // 00000000D038: 8F3D9852
	s_and_b32 s82, s82, 0xffffff                               // 00000000D03C: 8652FF52 00FFFFFF
	s_mul_i32 s82, s82, s71                                    // 00000000D044: 92524752
	s_mul_i32 s61, s60, s61                                    // 00000000D048: 923D3D3C
	s_add_u32 s82, s82, s61                                    // 00000000D04C: 80523D52
	v_mul_lo_u32 v7, v4, s82                                   // 00000000D050: D2850007 0000A504
	v_add_u32_e32 v53, v6, v7                                  // 00000000D058: 686A0F06
	v_readlane_b32 s82, v3, 12                                 // 00000000D05C: D2890052 00011903
	s_lshr_b32 s61, s82, 24                                    // 00000000D064: 8F3D9852
	s_and_b32 s82, s82, 0xffffff                               // 00000000D068: 8652FF52 00FFFFFF
	s_mul_i32 s82, s82, s71                                    // 00000000D070: 92524752
	s_mul_i32 s61, s60, s61                                    // 00000000D074: 923D3D3C
	s_add_u32 s82, s82, s61                                    // 00000000D078: 80523D52
	v_mul_lo_u32 v6, v5, s82                                   // 00000000D07C: D2850006 0000A505
	v_readlane_b32 s82, v3, 13                                 // 00000000D084: D2890052 00011B03
	s_lshr_b32 s61, s82, 24                                    // 00000000D08C: 8F3D9852
	s_and_b32 s82, s82, 0xffffff                               // 00000000D090: 8652FF52 00FFFFFF
	s_mul_i32 s82, s82, s71                                    // 00000000D098: 92524752
	s_mul_i32 s61, s60, s61                                    // 00000000D09C: 923D3D3C
	s_add_u32 s82, s82, s61                                    // 00000000D0A0: 80523D52
	v_mul_lo_u32 v7, v4, s82                                   // 00000000D0A4: D2850007 0000A504
	v_add_u32_e32 v54, v6, v7                                  // 00000000D0AC: 686C0F06
	v_readlane_b32 s82, v3, 14                                 // 00000000D0B0: D2890052 00011D03
	s_lshr_b32 s61, s82, 24                                    // 00000000D0B8: 8F3D9852
	s_and_b32 s82, s82, 0xffffff                               // 00000000D0BC: 8652FF52 00FFFFFF
	s_mul_i32 s82, s82, s71                                    // 00000000D0C4: 92524752
	s_mul_i32 s61, s60, s61                                    // 00000000D0C8: 923D3D3C
	s_add_u32 s82, s82, s61                                    // 00000000D0CC: 80523D52
	v_mul_lo_u32 v6, v5, s82                                   // 00000000D0D0: D2850006 0000A505
	v_readlane_b32 s82, v3, 15                                 // 00000000D0D8: D2890052 00011F03
	s_lshr_b32 s61, s82, 24                                    // 00000000D0E0: 8F3D9852
	s_and_b32 s82, s82, 0xffffff                               // 00000000D0E4: 8652FF52 00FFFFFF
	s_mul_i32 s82, s82, s71                                    // 00000000D0EC: 92524752
	s_mul_i32 s61, s60, s61                                    // 00000000D0F0: 923D3D3C
	s_add_u32 s82, s82, s61                                    // 00000000D0F4: 80523D52
	v_mul_lo_u32 v7, v4, s82                                   // 00000000D0F8: D2850007 0000A504
	v_add_u32_e32 v55, v6, v7                                  // 00000000D100: 686E0F06
	v_readlane_b32 s82, v3, 16                                 // 00000000D104: D2890052 00012103
	s_lshr_b32 s61, s82, 24                                    // 00000000D10C: 8F3D9852
	s_and_b32 s82, s82, 0xffffff                               // 00000000D110: 8652FF52 00FFFFFF
	s_mul_i32 s82, s82, s71                                    // 00000000D118: 92524752
	s_mul_i32 s61, s60, s61                                    // 00000000D11C: 923D3D3C
	s_add_u32 s82, s82, s61                                    // 00000000D120: 80523D52
	v_mul_lo_u32 v6, v5, s82                                   // 00000000D124: D2850006 0000A505
	v_readlane_b32 s82, v3, 17                                 // 00000000D12C: D2890052 00012303
	s_lshr_b32 s61, s82, 24                                    // 00000000D134: 8F3D9852
	s_and_b32 s82, s82, 0xffffff                               // 00000000D138: 8652FF52 00FFFFFF
	s_mul_i32 s82, s82, s71                                    // 00000000D140: 92524752
	s_mul_i32 s61, s60, s61                                    // 00000000D144: 923D3D3C
	s_add_u32 s82, s82, s61                                    // 00000000D148: 80523D52
	v_mul_lo_u32 v7, v4, s82                                   // 00000000D14C: D2850007 0000A504
	v_add_u32_e32 v56, v6, v7                                  // 00000000D154: 68700F06
	v_readlane_b32 s82, v3, 18                                 // 00000000D158: D2890052 00012503
	s_lshr_b32 s61, s82, 24                                    // 00000000D160: 8F3D9852
	s_and_b32 s82, s82, 0xffffff                               // 00000000D164: 8652FF52 00FFFFFF
	s_mul_i32 s82, s82, s71                                    // 00000000D16C: 92524752
	s_mul_i32 s61, s60, s61                                    // 00000000D170: 923D3D3C
	s_add_u32 s82, s82, s61                                    // 00000000D174: 80523D52
	v_mul_lo_u32 v6, v5, s82                                   // 00000000D178: D2850006 0000A505
	v_readlane_b32 s82, v3, 19                                 // 00000000D180: D2890052 00012703
	s_lshr_b32 s61, s82, 24                                    // 00000000D188: 8F3D9852
	s_and_b32 s82, s82, 0xffffff                               // 00000000D18C: 8652FF52 00FFFFFF
	s_mul_i32 s82, s82, s71                                    // 00000000D194: 92524752
	s_mul_i32 s61, s60, s61                                    // 00000000D198: 923D3D3C
	s_add_u32 s82, s82, s61                                    // 00000000D19C: 80523D52
	v_mul_lo_u32 v7, v4, s82                                   // 00000000D1A0: D2850007 0000A504
	v_add_u32_e32 v57, v6, v7                                  // 00000000D1A8: 68720F06
	v_and_b32_e32 v4, 31, v0                                   // 00000000D1AC: 2608009F
	v_lshrrev_b32_e32 v4, 1, v4                                // 00000000D1B0: 20080881
	s_cmp_eq_u32 s88, 0                                        // 00000000D1B4: BF068058
	s_cselect_b32 s61, 2, 4                                    // 00000000D1B8: 853D8482
	v_mul_lo_u32 v4, v4, s61                                   // 00000000D1BC: D2850004 00007B04
	v_and_b32_e64 v5, v0, 1                                    // 00000000D1C4: D1130005 00010300
	v_add_u32_e32 v4, v4, v5                                   // 00000000D1CC: 68080B04
	v_lshlrev_b32_e32 v4, 2, v4                                // 00000000D1D0: 24080882
	v_add_u32_e32 v48, v48, v4                                 // 00000000D1D4: 68600930
	v_add_u32_e32 v49, v49, v4                                 // 00000000D1D8: 68620931
	v_add_u32_e32 v50, v50, v4                                 // 00000000D1DC: 68640932
	v_add_u32_e32 v51, v51, v4                                 // 00000000D1E0: 68660933
	v_add_u32_e32 v52, v52, v4                                 // 00000000D1E4: 68680934
	v_add_u32_e32 v53, v53, v4                                 // 00000000D1E8: 686A0935
	v_add_u32_e32 v54, v54, v4                                 // 00000000D1EC: 686C0936
	v_add_u32_e32 v55, v55, v4                                 // 00000000D1F0: 686E0937
	v_add_u32_e32 v56, v56, v4                                 // 00000000D1F4: 68700938
	v_add_u32_e32 v57, v57, v4                                 // 00000000D1F8: 68720939
	s_waitcnt lgkmcnt(0)                                       // 00000000D1FC: BF8CC07F
	s_barrier                                                  // 00000000D200: BF8A0000
	ds_read_b32 v64, v21                                       // 00000000D204: D86C0000 40000015
	ds_read_b32 v65, v21 offset:64                             // 00000000D20C: D86C0040 41000015
	ds_read_b32 v68, v21 offset:2176                           // 00000000D214: D86C0880 44000015
	ds_read_b32 v69, v21 offset:2240                           // 00000000D21C: D86C08C0 45000015
	ds_read_b32 v72, v21 offset:4352                           // 00000000D224: D86C1100 48000015
	ds_read_b32 v73, v21 offset:4416                           // 00000000D22C: D86C1140 49000015
	ds_read_b32 v76, v21 offset:6528                           // 00000000D234: D86C1980 4C000015
	ds_read_b32 v77, v21 offset:6592                           // 00000000D23C: D86C19C0 4D000015
	ds_read_b32 v80, v21 offset:8704                           // 00000000D244: D86C2200 50000015
	ds_read_b32 v81, v21 offset:8768                           // 00000000D24C: D86C2240 51000015
	ds_read_b32 v84, v21 offset:10880                          // 00000000D254: D86C2A80 54000015
	ds_read_b32 v85, v21 offset:10944                          // 00000000D25C: D86C2AC0 55000015
	ds_read_b32 v88, v21 offset:13056                          // 00000000D264: D86C3300 58000015
	ds_read_b32 v89, v21 offset:13120                          // 00000000D26C: D86C3340 59000015
	ds_read_b32 v92, v21 offset:15232                          // 00000000D274: D86C3B80 5C000015
	ds_read_b32 v93, v21 offset:15296                          // 00000000D27C: D86C3BC0 5D000015
	ds_read_b32 v96, v21 offset:17408                          // 00000000D284: D86C4400 60000015
	ds_read_b32 v97, v21 offset:17472                          // 00000000D28C: D86C4440 61000015
	ds_read_b32 v100, v21 offset:19584                         // 00000000D294: D86C4C80 64000015
	ds_read_b32 v101, v21 offset:19648                         // 00000000D29C: D86C4CC0 65000015
	ds_read_b32 v104, v21 offset:21760                         // 00000000D2A4: D86C5500 68000015
	ds_read_b32 v105, v21 offset:21824                         // 00000000D2AC: D86C5540 69000015
	ds_read_b32 v108, v21 offset:23936                         // 00000000D2B4: D86C5D80 6C000015
	ds_read_b32 v109, v21 offset:24000                         // 00000000D2BC: D86C5DC0 6D000015
	ds_read_b32 v112, v21 offset:26112                         // 00000000D2C4: D86C6600 70000015
	ds_read_b32 v113, v21 offset:26176                         // 00000000D2CC: D86C6640 71000015
	ds_read_b32 v116, v21 offset:28288                         // 00000000D2D4: D86C6E80 74000015
	ds_read_b32 v117, v21 offset:28352                         // 00000000D2DC: D86C6EC0 75000015
	ds_read_b32 v120, v21 offset:30464                         // 00000000D2E4: D86C7700 78000015
	ds_read_b32 v121, v21 offset:30528                         // 00000000D2EC: D86C7740 79000015
	ds_read_b32 v124, v21 offset:32640                         // 00000000D2F4: D86C7F80 7C000015
	ds_read_b32 v125, v21 offset:32704                         // 00000000D2FC: D86C7FC0 7D000015
	ds_read_b32 v128, v21 offset:34816                         // 00000000D304: D86C8800 80000015
	ds_read_b32 v129, v21 offset:34880                         // 00000000D30C: D86C8840 81000015
	ds_read_b32 v132, v21 offset:36992                         // 00000000D314: D86C9080 84000015
	ds_read_b32 v133, v21 offset:37056                         // 00000000D31C: D86C90C0 85000015
	ds_read_b32 v136, v21 offset:39168                         // 00000000D324: D86C9900 88000015
	ds_read_b32 v137, v21 offset:39232                         // 00000000D32C: D86C9940 89000015
	ds_read_b32 v140, v21 offset:41344                         // 00000000D334: D86CA180 8C000015
	ds_read_b32 v141, v21 offset:41408                         // 00000000D33C: D86CA1C0 8D000015
	s_waitcnt lgkmcnt(0)                                       // 00000000D344: BF8CC07F
	s_mov_b32 s36, -1                                          // 00000000D348: BEA400C1
	s_mov_b32 s37, -1                                          // 00000000D34C: BEA500C1
	v_mov_b32_e32 v7, 0                                        // 00000000D350: 7E0E0280
	s_mov_b64 exec, s[36:37]                                   // 00000000D354: BEFE0124
	v_mov_b32_e32 v6, v48                                      // 00000000D358: 7E0C0330
	s_mov_b64 s[60:61], 0                                      // 00000000D35C: BEBC0180
	v_readlane_b32 s82, v3, 0                                  // 00000000D360: D2890052 00010103
	s_and_b32 s82, s82, 0xffffff                               // 00000000D368: 8652FF52 00FFFFFF
	s_cmp_lt_u32 s82, s66                                      // 00000000D370: BF0A4252
	s_cselect_b32 s20, s36, s60                                // 00000000D374: 85143C24
	v_readlane_b32 s82, v3, 1                                  // 00000000D378: D2890052 00010303
	s_and_b32 s82, s82, 0xffffff                               // 00000000D380: 8652FF52 00FFFFFF
	s_cmp_lt_u32 s82, s66                                      // 00000000D388: BF0A4252
	s_cselect_b32 s21, s36, s60                                // 00000000D38C: 85153C24
	s_mov_b64 exec, s[20:21]                                   // 00000000D390: BEFE0114
	global_atomic_add_f32 v6, v64, s[8:9]                      // 00000000D394: DD348000 00084006
	global_atomic_add_f32 v6, v68, s[8:9] offset:256           // 00000000D39C: DD348100 00084406
	global_atomic_add_f32 v6, v72, s[8:9] offset:512           // 00000000D3A4: DD348200 00084806
	global_atomic_add_f32 v6, v76, s[8:9] offset:768           // 00000000D3AC: DD348300 00084C06
	s_mov_b64 exec, s[36:37]                                   // 00000000D3B4: BEFE0124
	v_mov_b32_e32 v6, v49                                      // 00000000D3B8: 7E0C0331
	s_mov_b64 s[60:61], 0                                      // 00000000D3BC: BEBC0180
	v_readlane_b32 s82, v3, 2                                  // 00000000D3C0: D2890052 00010503
	s_and_b32 s82, s82, 0xffffff                               // 00000000D3C8: 8652FF52 00FFFFFF
	s_cmp_lt_u32 s82, s66                                      // 00000000D3D0: BF0A4252
	s_cselect_b32 s20, s36, s60                                // 00000000D3D4: 85143C24
	v_readlane_b32 s82, v3, 3                                  // 00000000D3D8: D2890052 00010703
	s_and_b32 s82, s82, 0xffffff                               // 00000000D3E0: 8652FF52 00FFFFFF
	s_cmp_lt_u32 s82, s66                                      // 00000000D3E8: BF0A4252
	s_cselect_b32 s21, s36, s60                                // 00000000D3EC: 85153C24
	s_mov_b64 exec, s[20:21]                                   // 00000000D3F0: BEFE0114
	global_atomic_add_f32 v6, v65, s[8:9]                      // 00000000D3F4: DD348000 00084106
	global_atomic_add_f32 v6, v69, s[8:9] offset:256           // 00000000D3FC: DD348100 00084506
	global_atomic_add_f32 v6, v73, s[8:9] offset:512           // 00000000D404: DD348200 00084906
	global_atomic_add_f32 v6, v77, s[8:9] offset:768           // 00000000D40C: DD348300 00084D06
	s_mov_b64 exec, s[36:37]                                   // 00000000D414: BEFE0124
	v_mov_b32_e32 v6, v50                                      // 00000000D418: 7E0C0332
	s_mov_b64 s[60:61], 0                                      // 00000000D41C: BEBC0180
	v_readlane_b32 s82, v3, 4                                  // 00000000D420: D2890052 00010903
	s_and_b32 s82, s82, 0xffffff                               // 00000000D428: 8652FF52 00FFFFFF
	s_cmp_lt_u32 s82, s66                                      // 00000000D430: BF0A4252
	s_cselect_b32 s20, s36, s60                                // 00000000D434: 85143C24
	v_readlane_b32 s82, v3, 5                                  // 00000000D438: D2890052 00010B03
	s_and_b32 s82, s82, 0xffffff                               // 00000000D440: 8652FF52 00FFFFFF
	s_cmp_lt_u32 s82, s66                                      // 00000000D448: BF0A4252
	s_cselect_b32 s21, s36, s60                                // 00000000D44C: 85153C24
	s_mov_b64 exec, s[20:21]                                   // 00000000D450: BEFE0114
	global_atomic_add_f32 v6, v80, s[8:9]                      // 00000000D454: DD348000 00085006
	global_atomic_add_f32 v6, v84, s[8:9] offset:256           // 00000000D45C: DD348100 00085406
	global_atomic_add_f32 v6, v88, s[8:9] offset:512           // 00000000D464: DD348200 00085806
	global_atomic_add_f32 v6, v92, s[8:9] offset:768           // 00000000D46C: DD348300 00085C06
	s_mov_b64 exec, s[36:37]                                   // 00000000D474: BEFE0124
	v_mov_b32_e32 v6, v51                                      // 00000000D478: 7E0C0333
	s_mov_b64 s[60:61], 0                                      // 00000000D47C: BEBC0180
	v_readlane_b32 s82, v3, 6                                  // 00000000D480: D2890052 00010D03
	s_and_b32 s82, s82, 0xffffff                               // 00000000D488: 8652FF52 00FFFFFF
	s_cmp_lt_u32 s82, s66                                      // 00000000D490: BF0A4252
	s_cselect_b32 s20, s36, s60                                // 00000000D494: 85143C24
	v_readlane_b32 s82, v3, 7                                  // 00000000D498: D2890052 00010F03
	s_and_b32 s82, s82, 0xffffff                               // 00000000D4A0: 8652FF52 00FFFFFF
	s_cmp_lt_u32 s82, s66                                      // 00000000D4A8: BF0A4252
	s_cselect_b32 s21, s36, s60                                // 00000000D4AC: 85153C24
	s_mov_b64 exec, s[20:21]                                   // 00000000D4B0: BEFE0114
	global_atomic_add_f32 v6, v81, s[8:9]                      // 00000000D4B4: DD348000 00085106
	global_atomic_add_f32 v6, v85, s[8:9] offset:256           // 00000000D4BC: DD348100 00085506
	global_atomic_add_f32 v6, v89, s[8:9] offset:512           // 00000000D4C4: DD348200 00085906
	global_atomic_add_f32 v6, v93, s[8:9] offset:768           // 00000000D4CC: DD348300 00085D06
	s_mov_b64 exec, s[36:37]                                   // 00000000D4D4: BEFE0124
	v_mov_b32_e32 v6, v52                                      // 00000000D4D8: 7E0C0334
	s_mov_b64 s[60:61], 0                                      // 00000000D4DC: BEBC0180
	v_readlane_b32 s82, v3, 8                                  // 00000000D4E0: D2890052 00011103
	s_and_b32 s82, s82, 0xffffff                               // 00000000D4E8: 8652FF52 00FFFFFF
	s_cmp_lt_u32 s82, s66                                      // 00000000D4F0: BF0A4252
	s_cselect_b32 s20, s36, s60                                // 00000000D4F4: 85143C24
	v_readlane_b32 s82, v3, 9                                  // 00000000D4F8: D2890052 00011303
	s_and_b32 s82, s82, 0xffffff                               // 00000000D500: 8652FF52 00FFFFFF
	s_cmp_lt_u32 s82, s66                                      // 00000000D508: BF0A4252
	s_cselect_b32 s21, s36, s60                                // 00000000D50C: 85153C24
	s_mov_b64 exec, s[20:21]                                   // 00000000D510: BEFE0114
	global_atomic_add_f32 v6, v96, s[8:9]                      // 00000000D514: DD348000 00086006
	global_atomic_add_f32 v6, v100, s[8:9] offset:256          // 00000000D51C: DD348100 00086406
	global_atomic_add_f32 v6, v104, s[8:9] offset:512          // 00000000D524: DD348200 00086806
	global_atomic_add_f32 v6, v108, s[8:9] offset:768          // 00000000D52C: DD348300 00086C06
	s_mov_b64 exec, s[36:37]                                   // 00000000D534: BEFE0124
	v_mov_b32_e32 v6, v53                                      // 00000000D538: 7E0C0335
	s_mov_b64 s[60:61], 0                                      // 00000000D53C: BEBC0180
	v_readlane_b32 s82, v3, 10                                 // 00000000D540: D2890052 00011503
	s_and_b32 s82, s82, 0xffffff                               // 00000000D548: 8652FF52 00FFFFFF
	s_cmp_lt_u32 s82, s66                                      // 00000000D550: BF0A4252
	s_cselect_b32 s20, s36, s60                                // 00000000D554: 85143C24
	v_readlane_b32 s82, v3, 11                                 // 00000000D558: D2890052 00011703
	s_and_b32 s82, s82, 0xffffff                               // 00000000D560: 8652FF52 00FFFFFF
	s_cmp_lt_u32 s82, s66                                      // 00000000D568: BF0A4252
	s_cselect_b32 s21, s36, s60                                // 00000000D56C: 85153C24
	s_mov_b64 exec, s[20:21]                                   // 00000000D570: BEFE0114
	global_atomic_add_f32 v6, v97, s[8:9]                      // 00000000D574: DD348000 00086106
	global_atomic_add_f32 v6, v101, s[8:9] offset:256          // 00000000D57C: DD348100 00086506
	global_atomic_add_f32 v6, v105, s[8:9] offset:512          // 00000000D584: DD348200 00086906
	global_atomic_add_f32 v6, v109, s[8:9] offset:768          // 00000000D58C: DD348300 00086D06
	s_mov_b64 exec, s[36:37]                                   // 00000000D594: BEFE0124
	v_mov_b32_e32 v6, v54                                      // 00000000D598: 7E0C0336
	s_mov_b64 s[60:61], 0                                      // 00000000D59C: BEBC0180
	v_readlane_b32 s82, v3, 12                                 // 00000000D5A0: D2890052 00011903
	s_and_b32 s82, s82, 0xffffff                               // 00000000D5A8: 8652FF52 00FFFFFF
	s_cmp_lt_u32 s82, s66                                      // 00000000D5B0: BF0A4252
	s_cselect_b32 s20, s36, s60                                // 00000000D5B4: 85143C24
	v_readlane_b32 s82, v3, 13                                 // 00000000D5B8: D2890052 00011B03
	s_and_b32 s82, s82, 0xffffff                               // 00000000D5C0: 8652FF52 00FFFFFF
	s_cmp_lt_u32 s82, s66                                      // 00000000D5C8: BF0A4252
	s_cselect_b32 s21, s36, s60                                // 00000000D5CC: 85153C24
	s_mov_b64 exec, s[20:21]                                   // 00000000D5D0: BEFE0114
	global_atomic_add_f32 v6, v112, s[8:9]                     // 00000000D5D4: DD348000 00087006
	global_atomic_add_f32 v6, v116, s[8:9] offset:256          // 00000000D5DC: DD348100 00087406
	global_atomic_add_f32 v6, v120, s[8:9] offset:512          // 00000000D5E4: DD348200 00087806
	global_atomic_add_f32 v6, v124, s[8:9] offset:768          // 00000000D5EC: DD348300 00087C06
	s_mov_b64 exec, s[36:37]                                   // 00000000D5F4: BEFE0124
	v_mov_b32_e32 v6, v55                                      // 00000000D5F8: 7E0C0337
	s_mov_b64 s[60:61], 0                                      // 00000000D5FC: BEBC0180
	v_readlane_b32 s82, v3, 14                                 // 00000000D600: D2890052 00011D03
	s_and_b32 s82, s82, 0xffffff                               // 00000000D608: 8652FF52 00FFFFFF
	s_cmp_lt_u32 s82, s66                                      // 00000000D610: BF0A4252
	s_cselect_b32 s20, s36, s60                                // 00000000D614: 85143C24
	v_readlane_b32 s82, v3, 15                                 // 00000000D618: D2890052 00011F03
	s_and_b32 s82, s82, 0xffffff                               // 00000000D620: 8652FF52 00FFFFFF
	s_cmp_lt_u32 s82, s66                                      // 00000000D628: BF0A4252
	s_cselect_b32 s21, s36, s60                                // 00000000D62C: 85153C24
	s_mov_b64 exec, s[20:21]                                   // 00000000D630: BEFE0114
	global_atomic_add_f32 v6, v113, s[8:9]                     // 00000000D634: DD348000 00087106
	global_atomic_add_f32 v6, v117, s[8:9] offset:256          // 00000000D63C: DD348100 00087506
	global_atomic_add_f32 v6, v121, s[8:9] offset:512          // 00000000D644: DD348200 00087906
	global_atomic_add_f32 v6, v125, s[8:9] offset:768          // 00000000D64C: DD348300 00087D06
	s_mov_b64 exec, s[36:37]                                   // 00000000D654: BEFE0124
	v_mov_b32_e32 v6, v56                                      // 00000000D658: 7E0C0338
	s_mov_b64 s[60:61], 0                                      // 00000000D65C: BEBC0180
	v_readlane_b32 s82, v3, 16                                 // 00000000D660: D2890052 00012103
	s_and_b32 s82, s82, 0xffffff                               // 00000000D668: 8652FF52 00FFFFFF
	s_cmp_lt_u32 s82, s66                                      // 00000000D670: BF0A4252
	s_cselect_b32 s20, s36, s60                                // 00000000D674: 85143C24
	v_readlane_b32 s82, v3, 17                                 // 00000000D678: D2890052 00012303
	s_and_b32 s82, s82, 0xffffff                               // 00000000D680: 8652FF52 00FFFFFF
	s_cmp_lt_u32 s82, s66                                      // 00000000D688: BF0A4252
	s_cselect_b32 s21, s36, s60                                // 00000000D68C: 85153C24
	s_mov_b64 exec, s[20:21]                                   // 00000000D690: BEFE0114
	global_atomic_add_f32 v6, v128, s[8:9]                     // 00000000D694: DD348000 00088006
	global_atomic_add_f32 v6, v132, s[8:9] offset:256          // 00000000D69C: DD348100 00088406
	global_atomic_add_f32 v6, v136, s[8:9] offset:512          // 00000000D6A4: DD348200 00088806
	global_atomic_add_f32 v6, v140, s[8:9] offset:768          // 00000000D6AC: DD348300 00088C06
	s_mov_b64 exec, s[36:37]                                   // 00000000D6B4: BEFE0124
	v_mov_b32_e32 v6, v57                                      // 00000000D6B8: 7E0C0339
	s_mov_b64 s[60:61], 0                                      // 00000000D6BC: BEBC0180
	v_readlane_b32 s82, v3, 18                                 // 00000000D6C0: D2890052 00012503
	s_and_b32 s82, s82, 0xffffff                               // 00000000D6C8: 8652FF52 00FFFFFF
	s_cmp_lt_u32 s82, s66                                      // 00000000D6D0: BF0A4252
	s_cselect_b32 s20, s36, s60                                // 00000000D6D4: 85143C24
	v_readlane_b32 s82, v3, 19                                 // 00000000D6D8: D2890052 00012703
	s_and_b32 s82, s82, 0xffffff                               // 00000000D6E0: 8652FF52 00FFFFFF
	s_cmp_lt_u32 s82, s66                                      // 00000000D6E8: BF0A4252
	s_cselect_b32 s21, s36, s60                                // 00000000D6EC: 85153C24
	s_mov_b64 exec, s[20:21]                                   // 00000000D6F0: BEFE0114
	global_atomic_add_f32 v6, v129, s[8:9]                     // 00000000D6F4: DD348000 00088106
	global_atomic_add_f32 v6, v133, s[8:9] offset:256          // 00000000D6FC: DD348100 00088506
	global_atomic_add_f32 v6, v137, s[8:9] offset:512          // 00000000D704: DD348200 00088906
	global_atomic_add_f32 v6, v141, s[8:9] offset:768          // 00000000D70C: DD348300 00088D06
	s_mov_b64 exec, s[36:37]                                   // 00000000D714: BEFE0124
	ds_write_b64 v20, v[66:67]                                 // 00000000D718: D89A0000 00004214
	ds_write_b64 v20, v[70:71] offset:8704                     // 00000000D720: D89A2200 00004614
	ds_write_b64 v20, v[74:75] offset:17408                    // 00000000D728: D89A4400 00004A14
	ds_write_b64 v20, v[78:79] offset:26112                    // 00000000D730: D89A6600 00004E14
	ds_write_b64 v20, v[82:83] offset:34816                    // 00000000D738: D89A8800 00005214
	ds_write_b64 v20, v[86:87] offset:2176                     // 00000000D740: D89A0880 00005614
	ds_write_b64 v20, v[90:91] offset:10880                    // 00000000D748: D89A2A80 00005A14
	ds_write_b64 v20, v[94:95] offset:19584                    // 00000000D750: D89A4C80 00005E14
	ds_write_b64 v20, v[98:99] offset:28288                    // 00000000D758: D89A6E80 00006214
	ds_write_b64 v20, v[102:103] offset:36992                  // 00000000D760: D89A9080 00006614
	ds_write_b64 v20, v[106:107] offset:4352                   // 00000000D768: D89A1100 00006A14
	ds_write_b64 v20, v[110:111] offset:13056                  // 00000000D770: D89A3300 00006E14
	ds_write_b64 v20, v[114:115] offset:21760                  // 00000000D778: D89A5500 00007214
	ds_write_b64 v20, v[118:119] offset:30464                  // 00000000D780: D89A7700 00007614
	ds_write_b64 v20, v[122:123] offset:39168                  // 00000000D788: D89A9900 00007A14
	ds_write_b64 v20, v[126:127] offset:6528                   // 00000000D790: D89A1980 00007E14
	ds_write_b64 v20, v[130:131] offset:15232                  // 00000000D798: D89A3B80 00008214
	ds_write_b64 v20, v[134:135] offset:23936                  // 00000000D7A0: D89A5D80 00008614
	ds_write_b64 v20, v[138:139] offset:32640                  // 00000000D7A8: D89A7F80 00008A14
	ds_write_b64 v20, v[142:143] offset:41344                  // 00000000D7B0: D89AA180 00008E14
	s_waitcnt lgkmcnt(0)                                       // 00000000D7B8: BF8CC07F
	s_barrier                                                  // 00000000D7BC: BF8A0000
	ds_read_b32 v66, v21                                       // 00000000D7C0: D86C0000 42000015
	ds_read_b32 v67, v21 offset:64                             // 00000000D7C8: D86C0040 43000015
	ds_read_b32 v70, v21 offset:2176                           // 00000000D7D0: D86C0880 46000015
	ds_read_b32 v71, v21 offset:2240                           // 00000000D7D8: D86C08C0 47000015
	ds_read_b32 v74, v21 offset:4352                           // 00000000D7E0: D86C1100 4A000015
	ds_read_b32 v75, v21 offset:4416                           // 00000000D7E8: D86C1140 4B000015
	ds_read_b32 v78, v21 offset:6528                           // 00000000D7F0: D86C1980 4E000015
	ds_read_b32 v79, v21 offset:6592                           // 00000000D7F8: D86C19C0 4F000015
	ds_read_b32 v82, v21 offset:8704                           // 00000000D800: D86C2200 52000015
	ds_read_b32 v83, v21 offset:8768                           // 00000000D808: D86C2240 53000015
	ds_read_b32 v86, v21 offset:10880                          // 00000000D810: D86C2A80 56000015
	ds_read_b32 v87, v21 offset:10944                          // 00000000D818: D86C2AC0 57000015
	ds_read_b32 v90, v21 offset:13056                          // 00000000D820: D86C3300 5A000015
	ds_read_b32 v91, v21 offset:13120                          // 00000000D828: D86C3340 5B000015
	ds_read_b32 v94, v21 offset:15232                          // 00000000D830: D86C3B80 5E000015
	ds_read_b32 v95, v21 offset:15296                          // 00000000D838: D86C3BC0 5F000015
	ds_read_b32 v98, v21 offset:17408                          // 00000000D840: D86C4400 62000015
	ds_read_b32 v99, v21 offset:17472                          // 00000000D848: D86C4440 63000015
	ds_read_b32 v102, v21 offset:19584                         // 00000000D850: D86C4C80 66000015
	ds_read_b32 v103, v21 offset:19648                         // 00000000D858: D86C4CC0 67000015
	ds_read_b32 v106, v21 offset:21760                         // 00000000D860: D86C5500 6A000015
	ds_read_b32 v107, v21 offset:21824                         // 00000000D868: D86C5540 6B000015
	ds_read_b32 v110, v21 offset:23936                         // 00000000D870: D86C5D80 6E000015
	ds_read_b32 v111, v21 offset:24000                         // 00000000D878: D86C5DC0 6F000015
	ds_read_b32 v114, v21 offset:26112                         // 00000000D880: D86C6600 72000015
	ds_read_b32 v115, v21 offset:26176                         // 00000000D888: D86C6640 73000015
	ds_read_b32 v118, v21 offset:28288                         // 00000000D890: D86C6E80 76000015
	ds_read_b32 v119, v21 offset:28352                         // 00000000D898: D86C6EC0 77000015
	ds_read_b32 v122, v21 offset:30464                         // 00000000D8A0: D86C7700 7A000015
	ds_read_b32 v123, v21 offset:30528                         // 00000000D8A8: D86C7740 7B000015
	ds_read_b32 v126, v21 offset:32640                         // 00000000D8B0: D86C7F80 7E000015
	ds_read_b32 v127, v21 offset:32704                         // 00000000D8B8: D86C7FC0 7F000015
	ds_read_b32 v130, v21 offset:34816                         // 00000000D8C0: D86C8800 82000015
	ds_read_b32 v131, v21 offset:34880                         // 00000000D8C8: D86C8840 83000015
	ds_read_b32 v134, v21 offset:36992                         // 00000000D8D0: D86C9080 86000015
	ds_read_b32 v135, v21 offset:37056                         // 00000000D8D8: D86C90C0 87000015
	ds_read_b32 v138, v21 offset:39168                         // 00000000D8E0: D86C9900 8A000015
	ds_read_b32 v139, v21 offset:39232                         // 00000000D8E8: D86C9940 8B000015
	ds_read_b32 v142, v21 offset:41344                         // 00000000D8F0: D86CA180 8E000015
	ds_read_b32 v143, v21 offset:41408                         // 00000000D8F8: D86CA1C0 8F000015
	s_waitcnt lgkmcnt(0)                                       // 00000000D900: BF8CC07F
	v_mov_b32_e32 v7, 0                                        // 00000000D904: 7E0E0280
	s_mov_b64 exec, s[36:37]                                   // 00000000D908: BEFE0124
	v_mov_b32_e32 v6, v48                                      // 00000000D90C: 7E0C0330
	s_mov_b64 s[60:61], 0                                      // 00000000D910: BEBC0180
	v_readlane_b32 s82, v3, 0                                  // 00000000D914: D2890052 00010103
	s_and_b32 s82, s82, 0xffffff                               // 00000000D91C: 8652FF52 00FFFFFF
	s_cmp_lt_u32 s82, s66                                      // 00000000D924: BF0A4252
	s_cselect_b32 s20, s36, s60                                // 00000000D928: 85143C24
	v_readlane_b32 s82, v3, 1                                  // 00000000D92C: D2890052 00010303
	s_and_b32 s82, s82, 0xffffff                               // 00000000D934: 8652FF52 00FFFFFF
	s_cmp_lt_u32 s82, s66                                      // 00000000D93C: BF0A4252
	s_cselect_b32 s21, s36, s60                                // 00000000D940: 85153C24
	s_mov_b64 exec, s[20:21]                                   // 00000000D944: BEFE0114
	global_atomic_add_f32 v6, v66, s[8:9] offset:8             // 00000000D948: DD348008 00084206
	global_atomic_add_f32 v6, v70, s[8:9] offset:264           // 00000000D950: DD348108 00084606
	global_atomic_add_f32 v6, v74, s[8:9] offset:520           // 00000000D958: DD348208 00084A06
	global_atomic_add_f32 v6, v78, s[8:9] offset:776           // 00000000D960: DD348308 00084E06
	s_mov_b64 exec, s[36:37]                                   // 00000000D968: BEFE0124
	v_mov_b32_e32 v6, v49                                      // 00000000D96C: 7E0C0331
	s_mov_b64 s[60:61], 0                                      // 00000000D970: BEBC0180
	v_readlane_b32 s82, v3, 2                                  // 00000000D974: D2890052 00010503
	s_and_b32 s82, s82, 0xffffff                               // 00000000D97C: 8652FF52 00FFFFFF
	s_cmp_lt_u32 s82, s66                                      // 00000000D984: BF0A4252
	s_cselect_b32 s20, s36, s60                                // 00000000D988: 85143C24
	v_readlane_b32 s82, v3, 3                                  // 00000000D98C: D2890052 00010703
	s_and_b32 s82, s82, 0xffffff                               // 00000000D994: 8652FF52 00FFFFFF
	s_cmp_lt_u32 s82, s66                                      // 00000000D99C: BF0A4252
	s_cselect_b32 s21, s36, s60                                // 00000000D9A0: 85153C24
	s_mov_b64 exec, s[20:21]                                   // 00000000D9A4: BEFE0114
	global_atomic_add_f32 v6, v67, s[8:9] offset:8             // 00000000D9A8: DD348008 00084306
	global_atomic_add_f32 v6, v71, s[8:9] offset:264           // 00000000D9B0: DD348108 00084706
	global_atomic_add_f32 v6, v75, s[8:9] offset:520           // 00000000D9B8: DD348208 00084B06
	global_atomic_add_f32 v6, v79, s[8:9] offset:776           // 00000000D9C0: DD348308 00084F06
	s_mov_b64 exec, s[36:37]                                   // 00000000D9C8: BEFE0124
	v_mov_b32_e32 v6, v50                                      // 00000000D9CC: 7E0C0332
	s_mov_b64 s[60:61], 0                                      // 00000000D9D0: BEBC0180
	v_readlane_b32 s82, v3, 4                                  // 00000000D9D4: D2890052 00010903
	s_and_b32 s82, s82, 0xffffff                               // 00000000D9DC: 8652FF52 00FFFFFF
	s_cmp_lt_u32 s82, s66                                      // 00000000D9E4: BF0A4252
	s_cselect_b32 s20, s36, s60                                // 00000000D9E8: 85143C24
	v_readlane_b32 s82, v3, 5                                  // 00000000D9EC: D2890052 00010B03
	s_and_b32 s82, s82, 0xffffff                               // 00000000D9F4: 8652FF52 00FFFFFF
	s_cmp_lt_u32 s82, s66                                      // 00000000D9FC: BF0A4252
	s_cselect_b32 s21, s36, s60                                // 00000000DA00: 85153C24
	s_mov_b64 exec, s[20:21]                                   // 00000000DA04: BEFE0114
	global_atomic_add_f32 v6, v82, s[8:9] offset:8             // 00000000DA08: DD348008 00085206
	global_atomic_add_f32 v6, v86, s[8:9] offset:264           // 00000000DA10: DD348108 00085606
	global_atomic_add_f32 v6, v90, s[8:9] offset:520           // 00000000DA18: DD348208 00085A06
	global_atomic_add_f32 v6, v94, s[8:9] offset:776           // 00000000DA20: DD348308 00085E06
	s_mov_b64 exec, s[36:37]                                   // 00000000DA28: BEFE0124
	v_mov_b32_e32 v6, v51                                      // 00000000DA2C: 7E0C0333
	s_mov_b64 s[60:61], 0                                      // 00000000DA30: BEBC0180
	v_readlane_b32 s82, v3, 6                                  // 00000000DA34: D2890052 00010D03
	s_and_b32 s82, s82, 0xffffff                               // 00000000DA3C: 8652FF52 00FFFFFF
	s_cmp_lt_u32 s82, s66                                      // 00000000DA44: BF0A4252
	s_cselect_b32 s20, s36, s60                                // 00000000DA48: 85143C24
	v_readlane_b32 s82, v3, 7                                  // 00000000DA4C: D2890052 00010F03
	s_and_b32 s82, s82, 0xffffff                               // 00000000DA54: 8652FF52 00FFFFFF
	s_cmp_lt_u32 s82, s66                                      // 00000000DA5C: BF0A4252
	s_cselect_b32 s21, s36, s60                                // 00000000DA60: 85153C24
	s_mov_b64 exec, s[20:21]                                   // 00000000DA64: BEFE0114
	global_atomic_add_f32 v6, v83, s[8:9] offset:8             // 00000000DA68: DD348008 00085306
	global_atomic_add_f32 v6, v87, s[8:9] offset:264           // 00000000DA70: DD348108 00085706
	global_atomic_add_f32 v6, v91, s[8:9] offset:520           // 00000000DA78: DD348208 00085B06
	global_atomic_add_f32 v6, v95, s[8:9] offset:776           // 00000000DA80: DD348308 00085F06
	s_mov_b64 exec, s[36:37]                                   // 00000000DA88: BEFE0124
	v_mov_b32_e32 v6, v52                                      // 00000000DA8C: 7E0C0334
	s_mov_b64 s[60:61], 0                                      // 00000000DA90: BEBC0180
	v_readlane_b32 s82, v3, 8                                  // 00000000DA94: D2890052 00011103
	s_and_b32 s82, s82, 0xffffff                               // 00000000DA9C: 8652FF52 00FFFFFF
	s_cmp_lt_u32 s82, s66                                      // 00000000DAA4: BF0A4252
	s_cselect_b32 s20, s36, s60                                // 00000000DAA8: 85143C24
	v_readlane_b32 s82, v3, 9                                  // 00000000DAAC: D2890052 00011303
	s_and_b32 s82, s82, 0xffffff                               // 00000000DAB4: 8652FF52 00FFFFFF
	s_cmp_lt_u32 s82, s66                                      // 00000000DABC: BF0A4252
	s_cselect_b32 s21, s36, s60                                // 00000000DAC0: 85153C24
	s_mov_b64 exec, s[20:21]                                   // 00000000DAC4: BEFE0114
	global_atomic_add_f32 v6, v98, s[8:9] offset:8             // 00000000DAC8: DD348008 00086206
	global_atomic_add_f32 v6, v102, s[8:9] offset:264          // 00000000DAD0: DD348108 00086606
	global_atomic_add_f32 v6, v106, s[8:9] offset:520          // 00000000DAD8: DD348208 00086A06
	global_atomic_add_f32 v6, v110, s[8:9] offset:776          // 00000000DAE0: DD348308 00086E06
	s_mov_b64 exec, s[36:37]                                   // 00000000DAE8: BEFE0124
	v_mov_b32_e32 v6, v53                                      // 00000000DAEC: 7E0C0335
	s_mov_b64 s[60:61], 0                                      // 00000000DAF0: BEBC0180
	v_readlane_b32 s82, v3, 10                                 // 00000000DAF4: D2890052 00011503
	s_and_b32 s82, s82, 0xffffff                               // 00000000DAFC: 8652FF52 00FFFFFF
	s_cmp_lt_u32 s82, s66                                      // 00000000DB04: BF0A4252
	s_cselect_b32 s20, s36, s60                                // 00000000DB08: 85143C24
	v_readlane_b32 s82, v3, 11                                 // 00000000DB0C: D2890052 00011703
	s_and_b32 s82, s82, 0xffffff                               // 00000000DB14: 8652FF52 00FFFFFF
	s_cmp_lt_u32 s82, s66                                      // 00000000DB1C: BF0A4252
	s_cselect_b32 s21, s36, s60                                // 00000000DB20: 85153C24
	s_mov_b64 exec, s[20:21]                                   // 00000000DB24: BEFE0114
	global_atomic_add_f32 v6, v99, s[8:9] offset:8             // 00000000DB28: DD348008 00086306
	global_atomic_add_f32 v6, v103, s[8:9] offset:264          // 00000000DB30: DD348108 00086706
	global_atomic_add_f32 v6, v107, s[8:9] offset:520          // 00000000DB38: DD348208 00086B06
	global_atomic_add_f32 v6, v111, s[8:9] offset:776          // 00000000DB40: DD348308 00086F06
	s_mov_b64 exec, s[36:37]                                   // 00000000DB48: BEFE0124
	v_mov_b32_e32 v6, v54                                      // 00000000DB4C: 7E0C0336
	s_mov_b64 s[60:61], 0                                      // 00000000DB50: BEBC0180
	v_readlane_b32 s82, v3, 12                                 // 00000000DB54: D2890052 00011903
	s_and_b32 s82, s82, 0xffffff                               // 00000000DB5C: 8652FF52 00FFFFFF
	s_cmp_lt_u32 s82, s66                                      // 00000000DB64: BF0A4252
	s_cselect_b32 s20, s36, s60                                // 00000000DB68: 85143C24
	v_readlane_b32 s82, v3, 13                                 // 00000000DB6C: D2890052 00011B03
	s_and_b32 s82, s82, 0xffffff                               // 00000000DB74: 8652FF52 00FFFFFF
	s_cmp_lt_u32 s82, s66                                      // 00000000DB7C: BF0A4252
	s_cselect_b32 s21, s36, s60                                // 00000000DB80: 85153C24
	s_mov_b64 exec, s[20:21]                                   // 00000000DB84: BEFE0114
	global_atomic_add_f32 v6, v114, s[8:9] offset:8            // 00000000DB88: DD348008 00087206
	global_atomic_add_f32 v6, v118, s[8:9] offset:264          // 00000000DB90: DD348108 00087606
	global_atomic_add_f32 v6, v122, s[8:9] offset:520          // 00000000DB98: DD348208 00087A06
	global_atomic_add_f32 v6, v126, s[8:9] offset:776          // 00000000DBA0: DD348308 00087E06
	s_mov_b64 exec, s[36:37]                                   // 00000000DBA8: BEFE0124
	v_mov_b32_e32 v6, v55                                      // 00000000DBAC: 7E0C0337
	s_mov_b64 s[60:61], 0                                      // 00000000DBB0: BEBC0180
	v_readlane_b32 s82, v3, 14                                 // 00000000DBB4: D2890052 00011D03
	s_and_b32 s82, s82, 0xffffff                               // 00000000DBBC: 8652FF52 00FFFFFF
	s_cmp_lt_u32 s82, s66                                      // 00000000DBC4: BF0A4252
	s_cselect_b32 s20, s36, s60                                // 00000000DBC8: 85143C24
	v_readlane_b32 s82, v3, 15                                 // 00000000DBCC: D2890052 00011F03
	s_and_b32 s82, s82, 0xffffff                               // 00000000DBD4: 8652FF52 00FFFFFF
	s_cmp_lt_u32 s82, s66                                      // 00000000DBDC: BF0A4252
	s_cselect_b32 s21, s36, s60                                // 00000000DBE0: 85153C24
	s_mov_b64 exec, s[20:21]                                   // 00000000DBE4: BEFE0114
	global_atomic_add_f32 v6, v115, s[8:9] offset:8            // 00000000DBE8: DD348008 00087306
	global_atomic_add_f32 v6, v119, s[8:9] offset:264          // 00000000DBF0: DD348108 00087706
	global_atomic_add_f32 v6, v123, s[8:9] offset:520          // 00000000DBF8: DD348208 00087B06
	global_atomic_add_f32 v6, v127, s[8:9] offset:776          // 00000000DC00: DD348308 00087F06
	s_mov_b64 exec, s[36:37]                                   // 00000000DC08: BEFE0124
	v_mov_b32_e32 v6, v56                                      // 00000000DC0C: 7E0C0338
	s_mov_b64 s[60:61], 0                                      // 00000000DC10: BEBC0180
	v_readlane_b32 s82, v3, 16                                 // 00000000DC14: D2890052 00012103
	s_and_b32 s82, s82, 0xffffff                               // 00000000DC1C: 8652FF52 00FFFFFF
	s_cmp_lt_u32 s82, s66                                      // 00000000DC24: BF0A4252
	s_cselect_b32 s20, s36, s60                                // 00000000DC28: 85143C24
	v_readlane_b32 s82, v3, 17                                 // 00000000DC2C: D2890052 00012303
	s_and_b32 s82, s82, 0xffffff                               // 00000000DC34: 8652FF52 00FFFFFF
	s_cmp_lt_u32 s82, s66                                      // 00000000DC3C: BF0A4252
	s_cselect_b32 s21, s36, s60                                // 00000000DC40: 85153C24
	s_mov_b64 exec, s[20:21]                                   // 00000000DC44: BEFE0114
	global_atomic_add_f32 v6, v130, s[8:9] offset:8            // 00000000DC48: DD348008 00088206
	global_atomic_add_f32 v6, v134, s[8:9] offset:264          // 00000000DC50: DD348108 00088606
	global_atomic_add_f32 v6, v138, s[8:9] offset:520          // 00000000DC58: DD348208 00088A06
	global_atomic_add_f32 v6, v142, s[8:9] offset:776          // 00000000DC60: DD348308 00088E06
	s_mov_b64 exec, s[36:37]                                   // 00000000DC68: BEFE0124
	v_mov_b32_e32 v6, v57                                      // 00000000DC6C: 7E0C0339
	s_mov_b64 s[60:61], 0                                      // 00000000DC70: BEBC0180
	v_readlane_b32 s82, v3, 18                                 // 00000000DC74: D2890052 00012503
	s_and_b32 s82, s82, 0xffffff                               // 00000000DC7C: 8652FF52 00FFFFFF
	s_cmp_lt_u32 s82, s66                                      // 00000000DC84: BF0A4252
	s_cselect_b32 s20, s36, s60                                // 00000000DC88: 85143C24
	v_readlane_b32 s82, v3, 19                                 // 00000000DC8C: D2890052 00012703
	s_and_b32 s82, s82, 0xffffff                               // 00000000DC94: 8652FF52 00FFFFFF
	s_cmp_lt_u32 s82, s66                                      // 00000000DC9C: BF0A4252
	s_cselect_b32 s21, s36, s60                                // 00000000DCA0: 85153C24
	s_mov_b64 exec, s[20:21]                                   // 00000000DCA4: BEFE0114
	global_atomic_add_f32 v6, v131, s[8:9] offset:8            // 00000000DCA8: DD348008 00088306
	global_atomic_add_f32 v6, v135, s[8:9] offset:264          // 00000000DCB0: DD348108 00088706
	global_atomic_add_f32 v6, v139, s[8:9] offset:520          // 00000000DCB8: DD348208 00088B06
	global_atomic_add_f32 v6, v143, s[8:9] offset:776          // 00000000DCC0: DD348308 00088F06
	s_mov_b64 exec, s[36:37]                                   // 00000000DCC8: BEFE0124
	ds_write_b64 v20, v[144:145]                               // 00000000DCCC: D89A0000 00009014
	ds_write_b64 v20, v[148:149] offset:8704                   // 00000000DCD4: D89A2200 00009414
	ds_write_b64 v20, v[152:153] offset:17408                  // 00000000DCDC: D89A4400 00009814
	ds_write_b64 v20, v[156:157] offset:26112                  // 00000000DCE4: D89A6600 00009C14
	ds_write_b64 v20, v[160:161] offset:34816                  // 00000000DCEC: D89A8800 0000A014
	ds_write_b64 v20, v[164:165] offset:2176                   // 00000000DCF4: D89A0880 0000A414
	ds_write_b64 v20, v[168:169] offset:10880                  // 00000000DCFC: D89A2A80 0000A814
	ds_write_b64 v20, v[172:173] offset:19584                  // 00000000DD04: D89A4C80 0000AC14
	ds_write_b64 v20, v[176:177] offset:28288                  // 00000000DD0C: D89A6E80 0000B014
	ds_write_b64 v20, v[180:181] offset:36992                  // 00000000DD14: D89A9080 0000B414
	ds_write_b64 v20, v[184:185] offset:4352                   // 00000000DD1C: D89A1100 0000B814
	ds_write_b64 v20, v[188:189] offset:13056                  // 00000000DD24: D89A3300 0000BC14
	ds_write_b64 v20, v[192:193] offset:21760                  // 00000000DD2C: D89A5500 0000C014
	ds_write_b64 v20, v[196:197] offset:30464                  // 00000000DD34: D89A7700 0000C414
	ds_write_b64 v20, v[200:201] offset:39168                  // 00000000DD3C: D89A9900 0000C814
	ds_write_b64 v20, v[204:205] offset:6528                   // 00000000DD44: D89A1980 0000CC14
	ds_write_b64 v20, v[208:209] offset:15232                  // 00000000DD4C: D89A3B80 0000D014
	ds_write_b64 v20, v[212:213] offset:23936                  // 00000000DD54: D89A5D80 0000D414
	ds_write_b64 v20, v[216:217] offset:32640                  // 00000000DD5C: D89A7F80 0000D814
	ds_write_b64 v20, v[220:221] offset:41344                  // 00000000DD64: D89AA180 0000DC14
	s_waitcnt lgkmcnt(0)                                       // 00000000DD6C: BF8CC07F
	s_barrier                                                  // 00000000DD70: BF8A0000
	ds_read_b32 v144, v21                                      // 00000000DD74: D86C0000 90000015
	ds_read_b32 v145, v21 offset:64                            // 00000000DD7C: D86C0040 91000015
	ds_read_b32 v148, v21 offset:2176                          // 00000000DD84: D86C0880 94000015
	ds_read_b32 v149, v21 offset:2240                          // 00000000DD8C: D86C08C0 95000015
	ds_read_b32 v152, v21 offset:4352                          // 00000000DD94: D86C1100 98000015
	ds_read_b32 v153, v21 offset:4416                          // 00000000DD9C: D86C1140 99000015
	ds_read_b32 v156, v21 offset:6528                          // 00000000DDA4: D86C1980 9C000015
	ds_read_b32 v157, v21 offset:6592                          // 00000000DDAC: D86C19C0 9D000015
	ds_read_b32 v160, v21 offset:8704                          // 00000000DDB4: D86C2200 A0000015
	ds_read_b32 v161, v21 offset:8768                          // 00000000DDBC: D86C2240 A1000015
	ds_read_b32 v164, v21 offset:10880                         // 00000000DDC4: D86C2A80 A4000015
	ds_read_b32 v165, v21 offset:10944                         // 00000000DDCC: D86C2AC0 A5000015
	ds_read_b32 v168, v21 offset:13056                         // 00000000DDD4: D86C3300 A8000015
	ds_read_b32 v169, v21 offset:13120                         // 00000000DDDC: D86C3340 A9000015
	ds_read_b32 v172, v21 offset:15232                         // 00000000DDE4: D86C3B80 AC000015
	ds_read_b32 v173, v21 offset:15296                         // 00000000DDEC: D86C3BC0 AD000015
	ds_read_b32 v176, v21 offset:17408                         // 00000000DDF4: D86C4400 B0000015
	ds_read_b32 v177, v21 offset:17472                         // 00000000DDFC: D86C4440 B1000015
	ds_read_b32 v180, v21 offset:19584                         // 00000000DE04: D86C4C80 B4000015
	ds_read_b32 v181, v21 offset:19648                         // 00000000DE0C: D86C4CC0 B5000015
	ds_read_b32 v184, v21 offset:21760                         // 00000000DE14: D86C5500 B8000015
	ds_read_b32 v185, v21 offset:21824                         // 00000000DE1C: D86C5540 B9000015
	ds_read_b32 v188, v21 offset:23936                         // 00000000DE24: D86C5D80 BC000015
	ds_read_b32 v189, v21 offset:24000                         // 00000000DE2C: D86C5DC0 BD000015
	ds_read_b32 v192, v21 offset:26112                         // 00000000DE34: D86C6600 C0000015
	ds_read_b32 v193, v21 offset:26176                         // 00000000DE3C: D86C6640 C1000015
	ds_read_b32 v196, v21 offset:28288                         // 00000000DE44: D86C6E80 C4000015
	ds_read_b32 v197, v21 offset:28352                         // 00000000DE4C: D86C6EC0 C5000015
	ds_read_b32 v200, v21 offset:30464                         // 00000000DE54: D86C7700 C8000015
	ds_read_b32 v201, v21 offset:30528                         // 00000000DE5C: D86C7740 C9000015
	ds_read_b32 v204, v21 offset:32640                         // 00000000DE64: D86C7F80 CC000015
	ds_read_b32 v205, v21 offset:32704                         // 00000000DE6C: D86C7FC0 CD000015
	ds_read_b32 v208, v21 offset:34816                         // 00000000DE74: D86C8800 D0000015
	ds_read_b32 v209, v21 offset:34880                         // 00000000DE7C: D86C8840 D1000015
	ds_read_b32 v212, v21 offset:36992                         // 00000000DE84: D86C9080 D4000015
	ds_read_b32 v213, v21 offset:37056                         // 00000000DE8C: D86C90C0 D5000015
	ds_read_b32 v216, v21 offset:39168                         // 00000000DE94: D86C9900 D8000015
	ds_read_b32 v217, v21 offset:39232                         // 00000000DE9C: D86C9940 D9000015
	ds_read_b32 v220, v21 offset:41344                         // 00000000DEA4: D86CA180 DC000015
	ds_read_b32 v221, v21 offset:41408                         // 00000000DEAC: D86CA1C0 DD000015
	s_mul_i32 s60, s65, 4                                      // 00000000DEB4: 923C8441
	s_add_u32 s8, s60, s8                                      // 00000000DEB8: 8008083C
	s_addc_u32 s9, 0, s9                                       // 00000000DEBC: 82090980
	s_waitcnt lgkmcnt(0)                                       // 00000000DEC0: BF8CC07F
	v_mov_b32_e32 v7, 0                                        // 00000000DEC4: 7E0E0280
	s_mov_b64 exec, s[36:37]                                   // 00000000DEC8: BEFE0124
	v_mov_b32_e32 v6, v48                                      // 00000000DECC: 7E0C0330
	s_mov_b64 s[60:61], 0                                      // 00000000DED0: BEBC0180
	v_readlane_b32 s82, v3, 0                                  // 00000000DED4: D2890052 00010103
	s_and_b32 s82, s82, 0xffffff                               // 00000000DEDC: 8652FF52 00FFFFFF
	s_cmp_lt_u32 s82, s66                                      // 00000000DEE4: BF0A4252
	s_cselect_b32 s20, s36, s60                                // 00000000DEE8: 85143C24
	v_readlane_b32 s82, v3, 1                                  // 00000000DEEC: D2890052 00010303
	s_and_b32 s82, s82, 0xffffff                               // 00000000DEF4: 8652FF52 00FFFFFF
	s_cmp_lt_u32 s82, s66                                      // 00000000DEFC: BF0A4252
	s_cselect_b32 s21, s36, s60                                // 00000000DF00: 85153C24
	s_mov_b64 exec, s[20:21]                                   // 00000000DF04: BEFE0114
	global_atomic_add_f32 v6, v144, s[8:9]                     // 00000000DF08: DD348000 00089006
	global_atomic_add_f32 v6, v148, s[8:9] offset:256          // 00000000DF10: DD348100 00089406
	global_atomic_add_f32 v6, v152, s[8:9] offset:512          // 00000000DF18: DD348200 00089806
	global_atomic_add_f32 v6, v156, s[8:9] offset:768          // 00000000DF20: DD348300 00089C06
	s_mov_b64 exec, s[36:37]                                   // 00000000DF28: BEFE0124
	v_mov_b32_e32 v6, v49                                      // 00000000DF2C: 7E0C0331
	s_mov_b64 s[60:61], 0                                      // 00000000DF30: BEBC0180
	v_readlane_b32 s82, v3, 2                                  // 00000000DF34: D2890052 00010503
	s_and_b32 s82, s82, 0xffffff                               // 00000000DF3C: 8652FF52 00FFFFFF
	s_cmp_lt_u32 s82, s66                                      // 00000000DF44: BF0A4252
	s_cselect_b32 s20, s36, s60                                // 00000000DF48: 85143C24
	v_readlane_b32 s82, v3, 3                                  // 00000000DF4C: D2890052 00010703
	s_and_b32 s82, s82, 0xffffff                               // 00000000DF54: 8652FF52 00FFFFFF
	s_cmp_lt_u32 s82, s66                                      // 00000000DF5C: BF0A4252
	s_cselect_b32 s21, s36, s60                                // 00000000DF60: 85153C24
	s_mov_b64 exec, s[20:21]                                   // 00000000DF64: BEFE0114
	global_atomic_add_f32 v6, v145, s[8:9]                     // 00000000DF68: DD348000 00089106
	global_atomic_add_f32 v6, v149, s[8:9] offset:256          // 00000000DF70: DD348100 00089506
	global_atomic_add_f32 v6, v153, s[8:9] offset:512          // 00000000DF78: DD348200 00089906
	global_atomic_add_f32 v6, v157, s[8:9] offset:768          // 00000000DF80: DD348300 00089D06
	s_mov_b64 exec, s[36:37]                                   // 00000000DF88: BEFE0124
	v_mov_b32_e32 v6, v50                                      // 00000000DF8C: 7E0C0332
	s_mov_b64 s[60:61], 0                                      // 00000000DF90: BEBC0180
	v_readlane_b32 s82, v3, 4                                  // 00000000DF94: D2890052 00010903
	s_and_b32 s82, s82, 0xffffff                               // 00000000DF9C: 8652FF52 00FFFFFF
	s_cmp_lt_u32 s82, s66                                      // 00000000DFA4: BF0A4252
	s_cselect_b32 s20, s36, s60                                // 00000000DFA8: 85143C24
	v_readlane_b32 s82, v3, 5                                  // 00000000DFAC: D2890052 00010B03
	s_and_b32 s82, s82, 0xffffff                               // 00000000DFB4: 8652FF52 00FFFFFF
	s_cmp_lt_u32 s82, s66                                      // 00000000DFBC: BF0A4252
	s_cselect_b32 s21, s36, s60                                // 00000000DFC0: 85153C24
	s_mov_b64 exec, s[20:21]                                   // 00000000DFC4: BEFE0114
	global_atomic_add_f32 v6, v160, s[8:9]                     // 00000000DFC8: DD348000 0008A006
	global_atomic_add_f32 v6, v164, s[8:9] offset:256          // 00000000DFD0: DD348100 0008A406
	global_atomic_add_f32 v6, v168, s[8:9] offset:512          // 00000000DFD8: DD348200 0008A806
	global_atomic_add_f32 v6, v172, s[8:9] offset:768          // 00000000DFE0: DD348300 0008AC06
	s_mov_b64 exec, s[36:37]                                   // 00000000DFE8: BEFE0124
	v_mov_b32_e32 v6, v51                                      // 00000000DFEC: 7E0C0333
	s_mov_b64 s[60:61], 0                                      // 00000000DFF0: BEBC0180
	v_readlane_b32 s82, v3, 6                                  // 00000000DFF4: D2890052 00010D03
	s_and_b32 s82, s82, 0xffffff                               // 00000000DFFC: 8652FF52 00FFFFFF
	s_cmp_lt_u32 s82, s66                                      // 00000000E004: BF0A4252
	s_cselect_b32 s20, s36, s60                                // 00000000E008: 85143C24
	v_readlane_b32 s82, v3, 7                                  // 00000000E00C: D2890052 00010F03
	s_and_b32 s82, s82, 0xffffff                               // 00000000E014: 8652FF52 00FFFFFF
	s_cmp_lt_u32 s82, s66                                      // 00000000E01C: BF0A4252
	s_cselect_b32 s21, s36, s60                                // 00000000E020: 85153C24
	s_mov_b64 exec, s[20:21]                                   // 00000000E024: BEFE0114
	global_atomic_add_f32 v6, v161, s[8:9]                     // 00000000E028: DD348000 0008A106
	global_atomic_add_f32 v6, v165, s[8:9] offset:256          // 00000000E030: DD348100 0008A506
	global_atomic_add_f32 v6, v169, s[8:9] offset:512          // 00000000E038: DD348200 0008A906
	global_atomic_add_f32 v6, v173, s[8:9] offset:768          // 00000000E040: DD348300 0008AD06
	s_mov_b64 exec, s[36:37]                                   // 00000000E048: BEFE0124
	v_mov_b32_e32 v6, v52                                      // 00000000E04C: 7E0C0334
	s_mov_b64 s[60:61], 0                                      // 00000000E050: BEBC0180
	v_readlane_b32 s82, v3, 8                                  // 00000000E054: D2890052 00011103
	s_and_b32 s82, s82, 0xffffff                               // 00000000E05C: 8652FF52 00FFFFFF
	s_cmp_lt_u32 s82, s66                                      // 00000000E064: BF0A4252
	s_cselect_b32 s20, s36, s60                                // 00000000E068: 85143C24
	v_readlane_b32 s82, v3, 9                                  // 00000000E06C: D2890052 00011303
	s_and_b32 s82, s82, 0xffffff                               // 00000000E074: 8652FF52 00FFFFFF
	s_cmp_lt_u32 s82, s66                                      // 00000000E07C: BF0A4252
	s_cselect_b32 s21, s36, s60                                // 00000000E080: 85153C24
	s_mov_b64 exec, s[20:21]                                   // 00000000E084: BEFE0114
	global_atomic_add_f32 v6, v176, s[8:9]                     // 00000000E088: DD348000 0008B006
	global_atomic_add_f32 v6, v180, s[8:9] offset:256          // 00000000E090: DD348100 0008B406
	global_atomic_add_f32 v6, v184, s[8:9] offset:512          // 00000000E098: DD348200 0008B806
	global_atomic_add_f32 v6, v188, s[8:9] offset:768          // 00000000E0A0: DD348300 0008BC06
	s_mov_b64 exec, s[36:37]                                   // 00000000E0A8: BEFE0124
	v_mov_b32_e32 v6, v53                                      // 00000000E0AC: 7E0C0335
	s_mov_b64 s[60:61], 0                                      // 00000000E0B0: BEBC0180
	v_readlane_b32 s82, v3, 10                                 // 00000000E0B4: D2890052 00011503
	s_and_b32 s82, s82, 0xffffff                               // 00000000E0BC: 8652FF52 00FFFFFF
	s_cmp_lt_u32 s82, s66                                      // 00000000E0C4: BF0A4252
	s_cselect_b32 s20, s36, s60                                // 00000000E0C8: 85143C24
	v_readlane_b32 s82, v3, 11                                 // 00000000E0CC: D2890052 00011703
	s_and_b32 s82, s82, 0xffffff                               // 00000000E0D4: 8652FF52 00FFFFFF
	s_cmp_lt_u32 s82, s66                                      // 00000000E0DC: BF0A4252
	s_cselect_b32 s21, s36, s60                                // 00000000E0E0: 85153C24
	s_mov_b64 exec, s[20:21]                                   // 00000000E0E4: BEFE0114
	global_atomic_add_f32 v6, v177, s[8:9]                     // 00000000E0E8: DD348000 0008B106
	global_atomic_add_f32 v6, v181, s[8:9] offset:256          // 00000000E0F0: DD348100 0008B506
	global_atomic_add_f32 v6, v185, s[8:9] offset:512          // 00000000E0F8: DD348200 0008B906
	global_atomic_add_f32 v6, v189, s[8:9] offset:768          // 00000000E100: DD348300 0008BD06
	s_mov_b64 exec, s[36:37]                                   // 00000000E108: BEFE0124
	v_mov_b32_e32 v6, v54                                      // 00000000E10C: 7E0C0336
	s_mov_b64 s[60:61], 0                                      // 00000000E110: BEBC0180
	v_readlane_b32 s82, v3, 12                                 // 00000000E114: D2890052 00011903
	s_and_b32 s82, s82, 0xffffff                               // 00000000E11C: 8652FF52 00FFFFFF
	s_cmp_lt_u32 s82, s66                                      // 00000000E124: BF0A4252
	s_cselect_b32 s20, s36, s60                                // 00000000E128: 85143C24
	v_readlane_b32 s82, v3, 13                                 // 00000000E12C: D2890052 00011B03
	s_and_b32 s82, s82, 0xffffff                               // 00000000E134: 8652FF52 00FFFFFF
	s_cmp_lt_u32 s82, s66                                      // 00000000E13C: BF0A4252
	s_cselect_b32 s21, s36, s60                                // 00000000E140: 85153C24
	s_mov_b64 exec, s[20:21]                                   // 00000000E144: BEFE0114
	global_atomic_add_f32 v6, v192, s[8:9]                     // 00000000E148: DD348000 0008C006
	global_atomic_add_f32 v6, v196, s[8:9] offset:256          // 00000000E150: DD348100 0008C406
	global_atomic_add_f32 v6, v200, s[8:9] offset:512          // 00000000E158: DD348200 0008C806
	global_atomic_add_f32 v6, v204, s[8:9] offset:768          // 00000000E160: DD348300 0008CC06
	s_mov_b64 exec, s[36:37]                                   // 00000000E168: BEFE0124
	v_mov_b32_e32 v6, v55                                      // 00000000E16C: 7E0C0337
	s_mov_b64 s[60:61], 0                                      // 00000000E170: BEBC0180
	v_readlane_b32 s82, v3, 14                                 // 00000000E174: D2890052 00011D03
	s_and_b32 s82, s82, 0xffffff                               // 00000000E17C: 8652FF52 00FFFFFF
	s_cmp_lt_u32 s82, s66                                      // 00000000E184: BF0A4252
	s_cselect_b32 s20, s36, s60                                // 00000000E188: 85143C24
	v_readlane_b32 s82, v3, 15                                 // 00000000E18C: D2890052 00011F03
	s_and_b32 s82, s82, 0xffffff                               // 00000000E194: 8652FF52 00FFFFFF
	s_cmp_lt_u32 s82, s66                                      // 00000000E19C: BF0A4252
	s_cselect_b32 s21, s36, s60                                // 00000000E1A0: 85153C24
	s_mov_b64 exec, s[20:21]                                   // 00000000E1A4: BEFE0114
	global_atomic_add_f32 v6, v193, s[8:9]                     // 00000000E1A8: DD348000 0008C106
	global_atomic_add_f32 v6, v197, s[8:9] offset:256          // 00000000E1B0: DD348100 0008C506
	global_atomic_add_f32 v6, v201, s[8:9] offset:512          // 00000000E1B8: DD348200 0008C906
	global_atomic_add_f32 v6, v205, s[8:9] offset:768          // 00000000E1C0: DD348300 0008CD06
	s_mov_b64 exec, s[36:37]                                   // 00000000E1C8: BEFE0124
	v_mov_b32_e32 v6, v56                                      // 00000000E1CC: 7E0C0338
	s_mov_b64 s[60:61], 0                                      // 00000000E1D0: BEBC0180
	v_readlane_b32 s82, v3, 16                                 // 00000000E1D4: D2890052 00012103
	s_and_b32 s82, s82, 0xffffff                               // 00000000E1DC: 8652FF52 00FFFFFF
	s_cmp_lt_u32 s82, s66                                      // 00000000E1E4: BF0A4252
	s_cselect_b32 s20, s36, s60                                // 00000000E1E8: 85143C24
	v_readlane_b32 s82, v3, 17                                 // 00000000E1EC: D2890052 00012303
	s_and_b32 s82, s82, 0xffffff                               // 00000000E1F4: 8652FF52 00FFFFFF
	s_cmp_lt_u32 s82, s66                                      // 00000000E1FC: BF0A4252
	s_cselect_b32 s21, s36, s60                                // 00000000E200: 85153C24
	s_mov_b64 exec, s[20:21]                                   // 00000000E204: BEFE0114
	global_atomic_add_f32 v6, v208, s[8:9]                     // 00000000E208: DD348000 0008D006
	global_atomic_add_f32 v6, v212, s[8:9] offset:256          // 00000000E210: DD348100 0008D406
	global_atomic_add_f32 v6, v216, s[8:9] offset:512          // 00000000E218: DD348200 0008D806
	global_atomic_add_f32 v6, v220, s[8:9] offset:768          // 00000000E220: DD348300 0008DC06
	s_mov_b64 exec, s[36:37]                                   // 00000000E228: BEFE0124
	v_mov_b32_e32 v6, v57                                      // 00000000E22C: 7E0C0339
	s_mov_b64 s[60:61], 0                                      // 00000000E230: BEBC0180
	v_readlane_b32 s82, v3, 18                                 // 00000000E234: D2890052 00012503
	s_and_b32 s82, s82, 0xffffff                               // 00000000E23C: 8652FF52 00FFFFFF
	s_cmp_lt_u32 s82, s66                                      // 00000000E244: BF0A4252
	s_cselect_b32 s20, s36, s60                                // 00000000E248: 85143C24
	v_readlane_b32 s82, v3, 19                                 // 00000000E24C: D2890052 00012703
	s_and_b32 s82, s82, 0xffffff                               // 00000000E254: 8652FF52 00FFFFFF
	s_cmp_lt_u32 s82, s66                                      // 00000000E25C: BF0A4252
	s_cselect_b32 s21, s36, s60                                // 00000000E260: 85153C24
	s_mov_b64 exec, s[20:21]                                   // 00000000E264: BEFE0114
	global_atomic_add_f32 v6, v209, s[8:9]                     // 00000000E268: DD348000 0008D106
	global_atomic_add_f32 v6, v213, s[8:9] offset:256          // 00000000E270: DD348100 0008D506
	global_atomic_add_f32 v6, v217, s[8:9] offset:512          // 00000000E278: DD348200 0008D906
	global_atomic_add_f32 v6, v221, s[8:9] offset:768          // 00000000E280: DD348300 0008DD06
	s_mov_b64 exec, s[36:37]                                   // 00000000E288: BEFE0124
	ds_write_b64 v20, v[146:147]                               // 00000000E28C: D89A0000 00009214
	ds_write_b64 v20, v[150:151] offset:8704                   // 00000000E294: D89A2200 00009614
	ds_write_b64 v20, v[154:155] offset:17408                  // 00000000E29C: D89A4400 00009A14
	ds_write_b64 v20, v[158:159] offset:26112                  // 00000000E2A4: D89A6600 00009E14
	ds_write_b64 v20, v[162:163] offset:34816                  // 00000000E2AC: D89A8800 0000A214
	ds_write_b64 v20, v[166:167] offset:2176                   // 00000000E2B4: D89A0880 0000A614
	ds_write_b64 v20, v[170:171] offset:10880                  // 00000000E2BC: D89A2A80 0000AA14
	ds_write_b64 v20, v[174:175] offset:19584                  // 00000000E2C4: D89A4C80 0000AE14
	ds_write_b64 v20, v[178:179] offset:28288                  // 00000000E2CC: D89A6E80 0000B214
	ds_write_b64 v20, v[182:183] offset:36992                  // 00000000E2D4: D89A9080 0000B614
	ds_write_b64 v20, v[186:187] offset:4352                   // 00000000E2DC: D89A1100 0000BA14
	ds_write_b64 v20, v[190:191] offset:13056                  // 00000000E2E4: D89A3300 0000BE14
	ds_write_b64 v20, v[194:195] offset:21760                  // 00000000E2EC: D89A5500 0000C214
	ds_write_b64 v20, v[198:199] offset:30464                  // 00000000E2F4: D89A7700 0000C614
	ds_write_b64 v20, v[202:203] offset:39168                  // 00000000E2FC: D89A9900 0000CA14
	ds_write_b64 v20, v[206:207] offset:6528                   // 00000000E304: D89A1980 0000CE14
	ds_write_b64 v20, v[210:211] offset:15232                  // 00000000E30C: D89A3B80 0000D214
	ds_write_b64 v20, v[214:215] offset:23936                  // 00000000E314: D89A5D80 0000D614
	ds_write_b64 v20, v[218:219] offset:32640                  // 00000000E31C: D89A7F80 0000DA14
	ds_write_b64 v20, v[222:223] offset:41344                  // 00000000E324: D89AA180 0000DE14
	s_waitcnt lgkmcnt(0)                                       // 00000000E32C: BF8CC07F
	s_barrier                                                  // 00000000E330: BF8A0000
	ds_read_b32 v146, v21                                      // 00000000E334: D86C0000 92000015
	ds_read_b32 v147, v21 offset:64                            // 00000000E33C: D86C0040 93000015
	ds_read_b32 v150, v21 offset:2176                          // 00000000E344: D86C0880 96000015
	ds_read_b32 v151, v21 offset:2240                          // 00000000E34C: D86C08C0 97000015
	ds_read_b32 v154, v21 offset:4352                          // 00000000E354: D86C1100 9A000015
	ds_read_b32 v155, v21 offset:4416                          // 00000000E35C: D86C1140 9B000015
	ds_read_b32 v158, v21 offset:6528                          // 00000000E364: D86C1980 9E000015
	ds_read_b32 v159, v21 offset:6592                          // 00000000E36C: D86C19C0 9F000015
	ds_read_b32 v162, v21 offset:8704                          // 00000000E374: D86C2200 A2000015
	ds_read_b32 v163, v21 offset:8768                          // 00000000E37C: D86C2240 A3000015
	ds_read_b32 v166, v21 offset:10880                         // 00000000E384: D86C2A80 A6000015
	ds_read_b32 v167, v21 offset:10944                         // 00000000E38C: D86C2AC0 A7000015
	ds_read_b32 v170, v21 offset:13056                         // 00000000E394: D86C3300 AA000015
	ds_read_b32 v171, v21 offset:13120                         // 00000000E39C: D86C3340 AB000015
	ds_read_b32 v174, v21 offset:15232                         // 00000000E3A4: D86C3B80 AE000015
	ds_read_b32 v175, v21 offset:15296                         // 00000000E3AC: D86C3BC0 AF000015
	ds_read_b32 v178, v21 offset:17408                         // 00000000E3B4: D86C4400 B2000015
	ds_read_b32 v179, v21 offset:17472                         // 00000000E3BC: D86C4440 B3000015
	ds_read_b32 v182, v21 offset:19584                         // 00000000E3C4: D86C4C80 B6000015
	ds_read_b32 v183, v21 offset:19648                         // 00000000E3CC: D86C4CC0 B7000015
	ds_read_b32 v186, v21 offset:21760                         // 00000000E3D4: D86C5500 BA000015
	ds_read_b32 v187, v21 offset:21824                         // 00000000E3DC: D86C5540 BB000015
	ds_read_b32 v190, v21 offset:23936                         // 00000000E3E4: D86C5D80 BE000015
	ds_read_b32 v191, v21 offset:24000                         // 00000000E3EC: D86C5DC0 BF000015
	ds_read_b32 v194, v21 offset:26112                         // 00000000E3F4: D86C6600 C2000015
	ds_read_b32 v195, v21 offset:26176                         // 00000000E3FC: D86C6640 C3000015
	ds_read_b32 v198, v21 offset:28288                         // 00000000E404: D86C6E80 C6000015
	ds_read_b32 v199, v21 offset:28352                         // 00000000E40C: D86C6EC0 C7000015
	ds_read_b32 v202, v21 offset:30464                         // 00000000E414: D86C7700 CA000015
	ds_read_b32 v203, v21 offset:30528                         // 00000000E41C: D86C7740 CB000015
	ds_read_b32 v206, v21 offset:32640                         // 00000000E424: D86C7F80 CE000015
	ds_read_b32 v207, v21 offset:32704                         // 00000000E42C: D86C7FC0 CF000015
	ds_read_b32 v210, v21 offset:34816                         // 00000000E434: D86C8800 D2000015
	ds_read_b32 v211, v21 offset:34880                         // 00000000E43C: D86C8840 D3000015
	ds_read_b32 v214, v21 offset:36992                         // 00000000E444: D86C9080 D6000015
	ds_read_b32 v215, v21 offset:37056                         // 00000000E44C: D86C90C0 D7000015
	ds_read_b32 v218, v21 offset:39168                         // 00000000E454: D86C9900 DA000015
	ds_read_b32 v219, v21 offset:39232                         // 00000000E45C: D86C9940 DB000015
	ds_read_b32 v222, v21 offset:41344                         // 00000000E464: D86CA180 DE000015
	ds_read_b32 v223, v21 offset:41408                         // 00000000E46C: D86CA1C0 DF000015
	s_waitcnt lgkmcnt(0)                                       // 00000000E474: BF8CC07F
	v_mov_b32_e32 v7, 0                                        // 00000000E478: 7E0E0280
	s_mov_b64 exec, s[36:37]                                   // 00000000E47C: BEFE0124
	v_mov_b32_e32 v6, v48                                      // 00000000E480: 7E0C0330
	s_mov_b64 s[60:61], 0                                      // 00000000E484: BEBC0180
	v_readlane_b32 s82, v3, 0                                  // 00000000E488: D2890052 00010103
	s_and_b32 s82, s82, 0xffffff                               // 00000000E490: 8652FF52 00FFFFFF
	s_cmp_lt_u32 s82, s66                                      // 00000000E498: BF0A4252
	s_cselect_b32 s20, s36, s60                                // 00000000E49C: 85143C24
	v_readlane_b32 s82, v3, 1                                  // 00000000E4A0: D2890052 00010303
	s_and_b32 s82, s82, 0xffffff                               // 00000000E4A8: 8652FF52 00FFFFFF
	s_cmp_lt_u32 s82, s66                                      // 00000000E4B0: BF0A4252
	s_cselect_b32 s21, s36, s60                                // 00000000E4B4: 85153C24
	s_mov_b64 exec, s[20:21]                                   // 00000000E4B8: BEFE0114
	global_atomic_add_f32 v6, v146, s[8:9] offset:8            // 00000000E4BC: DD348008 00089206
	global_atomic_add_f32 v6, v150, s[8:9] offset:264          // 00000000E4C4: DD348108 00089606
	global_atomic_add_f32 v6, v154, s[8:9] offset:520          // 00000000E4CC: DD348208 00089A06
	global_atomic_add_f32 v6, v158, s[8:9] offset:776          // 00000000E4D4: DD348308 00089E06
	s_mov_b64 exec, s[36:37]                                   // 00000000E4DC: BEFE0124
	v_mov_b32_e32 v6, v49                                      // 00000000E4E0: 7E0C0331
	s_mov_b64 s[60:61], 0                                      // 00000000E4E4: BEBC0180
	v_readlane_b32 s82, v3, 2                                  // 00000000E4E8: D2890052 00010503
	s_and_b32 s82, s82, 0xffffff                               // 00000000E4F0: 8652FF52 00FFFFFF
	s_cmp_lt_u32 s82, s66                                      // 00000000E4F8: BF0A4252
	s_cselect_b32 s20, s36, s60                                // 00000000E4FC: 85143C24
	v_readlane_b32 s82, v3, 3                                  // 00000000E500: D2890052 00010703
	s_and_b32 s82, s82, 0xffffff                               // 00000000E508: 8652FF52 00FFFFFF
	s_cmp_lt_u32 s82, s66                                      // 00000000E510: BF0A4252
	s_cselect_b32 s21, s36, s60                                // 00000000E514: 85153C24
	s_mov_b64 exec, s[20:21]                                   // 00000000E518: BEFE0114
	global_atomic_add_f32 v6, v147, s[8:9] offset:8            // 00000000E51C: DD348008 00089306
	global_atomic_add_f32 v6, v151, s[8:9] offset:264          // 00000000E524: DD348108 00089706
	global_atomic_add_f32 v6, v155, s[8:9] offset:520          // 00000000E52C: DD348208 00089B06
	global_atomic_add_f32 v6, v159, s[8:9] offset:776          // 00000000E534: DD348308 00089F06
	s_mov_b64 exec, s[36:37]                                   // 00000000E53C: BEFE0124
	v_mov_b32_e32 v6, v50                                      // 00000000E540: 7E0C0332
	s_mov_b64 s[60:61], 0                                      // 00000000E544: BEBC0180
	v_readlane_b32 s82, v3, 4                                  // 00000000E548: D2890052 00010903
	s_and_b32 s82, s82, 0xffffff                               // 00000000E550: 8652FF52 00FFFFFF
	s_cmp_lt_u32 s82, s66                                      // 00000000E558: BF0A4252
	s_cselect_b32 s20, s36, s60                                // 00000000E55C: 85143C24
	v_readlane_b32 s82, v3, 5                                  // 00000000E560: D2890052 00010B03
	s_and_b32 s82, s82, 0xffffff                               // 00000000E568: 8652FF52 00FFFFFF
	s_cmp_lt_u32 s82, s66                                      // 00000000E570: BF0A4252
	s_cselect_b32 s21, s36, s60                                // 00000000E574: 85153C24
	s_mov_b64 exec, s[20:21]                                   // 00000000E578: BEFE0114
	global_atomic_add_f32 v6, v162, s[8:9] offset:8            // 00000000E57C: DD348008 0008A206
	global_atomic_add_f32 v6, v166, s[8:9] offset:264          // 00000000E584: DD348108 0008A606
	global_atomic_add_f32 v6, v170, s[8:9] offset:520          // 00000000E58C: DD348208 0008AA06
	global_atomic_add_f32 v6, v174, s[8:9] offset:776          // 00000000E594: DD348308 0008AE06
	s_mov_b64 exec, s[36:37]                                   // 00000000E59C: BEFE0124
	v_mov_b32_e32 v6, v51                                      // 00000000E5A0: 7E0C0333
	s_mov_b64 s[60:61], 0                                      // 00000000E5A4: BEBC0180
	v_readlane_b32 s82, v3, 6                                  // 00000000E5A8: D2890052 00010D03
	s_and_b32 s82, s82, 0xffffff                               // 00000000E5B0: 8652FF52 00FFFFFF
	s_cmp_lt_u32 s82, s66                                      // 00000000E5B8: BF0A4252
	s_cselect_b32 s20, s36, s60                                // 00000000E5BC: 85143C24
	v_readlane_b32 s82, v3, 7                                  // 00000000E5C0: D2890052 00010F03
	s_and_b32 s82, s82, 0xffffff                               // 00000000E5C8: 8652FF52 00FFFFFF
	s_cmp_lt_u32 s82, s66                                      // 00000000E5D0: BF0A4252
	s_cselect_b32 s21, s36, s60                                // 00000000E5D4: 85153C24
	s_mov_b64 exec, s[20:21]                                   // 00000000E5D8: BEFE0114
	global_atomic_add_f32 v6, v163, s[8:9] offset:8            // 00000000E5DC: DD348008 0008A306
	global_atomic_add_f32 v6, v167, s[8:9] offset:264          // 00000000E5E4: DD348108 0008A706
	global_atomic_add_f32 v6, v171, s[8:9] offset:520          // 00000000E5EC: DD348208 0008AB06
	global_atomic_add_f32 v6, v175, s[8:9] offset:776          // 00000000E5F4: DD348308 0008AF06
	s_mov_b64 exec, s[36:37]                                   // 00000000E5FC: BEFE0124
	v_mov_b32_e32 v6, v52                                      // 00000000E600: 7E0C0334
	s_mov_b64 s[60:61], 0                                      // 00000000E604: BEBC0180
	v_readlane_b32 s82, v3, 8                                  // 00000000E608: D2890052 00011103
	s_and_b32 s82, s82, 0xffffff                               // 00000000E610: 8652FF52 00FFFFFF
	s_cmp_lt_u32 s82, s66                                      // 00000000E618: BF0A4252
	s_cselect_b32 s20, s36, s60                                // 00000000E61C: 85143C24
	v_readlane_b32 s82, v3, 9                                  // 00000000E620: D2890052 00011303
	s_and_b32 s82, s82, 0xffffff                               // 00000000E628: 8652FF52 00FFFFFF
	s_cmp_lt_u32 s82, s66                                      // 00000000E630: BF0A4252
	s_cselect_b32 s21, s36, s60                                // 00000000E634: 85153C24
	s_mov_b64 exec, s[20:21]                                   // 00000000E638: BEFE0114
	global_atomic_add_f32 v6, v178, s[8:9] offset:8            // 00000000E63C: DD348008 0008B206
	global_atomic_add_f32 v6, v182, s[8:9] offset:264          // 00000000E644: DD348108 0008B606
	global_atomic_add_f32 v6, v186, s[8:9] offset:520          // 00000000E64C: DD348208 0008BA06
	global_atomic_add_f32 v6, v190, s[8:9] offset:776          // 00000000E654: DD348308 0008BE06
	s_mov_b64 exec, s[36:37]                                   // 00000000E65C: BEFE0124
	v_mov_b32_e32 v6, v53                                      // 00000000E660: 7E0C0335
	s_mov_b64 s[60:61], 0                                      // 00000000E664: BEBC0180
	v_readlane_b32 s82, v3, 10                                 // 00000000E668: D2890052 00011503
	s_and_b32 s82, s82, 0xffffff                               // 00000000E670: 8652FF52 00FFFFFF
	s_cmp_lt_u32 s82, s66                                      // 00000000E678: BF0A4252
	s_cselect_b32 s20, s36, s60                                // 00000000E67C: 85143C24
	v_readlane_b32 s82, v3, 11                                 // 00000000E680: D2890052 00011703
	s_and_b32 s82, s82, 0xffffff                               // 00000000E688: 8652FF52 00FFFFFF
	s_cmp_lt_u32 s82, s66                                      // 00000000E690: BF0A4252
	s_cselect_b32 s21, s36, s60                                // 00000000E694: 85153C24
	s_mov_b64 exec, s[20:21]                                   // 00000000E698: BEFE0114
	global_atomic_add_f32 v6, v179, s[8:9] offset:8            // 00000000E69C: DD348008 0008B306
	global_atomic_add_f32 v6, v183, s[8:9] offset:264          // 00000000E6A4: DD348108 0008B706
	global_atomic_add_f32 v6, v187, s[8:9] offset:520          // 00000000E6AC: DD348208 0008BB06
	global_atomic_add_f32 v6, v191, s[8:9] offset:776          // 00000000E6B4: DD348308 0008BF06
	s_mov_b64 exec, s[36:37]                                   // 00000000E6BC: BEFE0124
	v_mov_b32_e32 v6, v54                                      // 00000000E6C0: 7E0C0336
	s_mov_b64 s[60:61], 0                                      // 00000000E6C4: BEBC0180
	v_readlane_b32 s82, v3, 12                                 // 00000000E6C8: D2890052 00011903
	s_and_b32 s82, s82, 0xffffff                               // 00000000E6D0: 8652FF52 00FFFFFF
	s_cmp_lt_u32 s82, s66                                      // 00000000E6D8: BF0A4252
	s_cselect_b32 s20, s36, s60                                // 00000000E6DC: 85143C24
	v_readlane_b32 s82, v3, 13                                 // 00000000E6E0: D2890052 00011B03
	s_and_b32 s82, s82, 0xffffff                               // 00000000E6E8: 8652FF52 00FFFFFF
	s_cmp_lt_u32 s82, s66                                      // 00000000E6F0: BF0A4252
	s_cselect_b32 s21, s36, s60                                // 00000000E6F4: 85153C24
	s_mov_b64 exec, s[20:21]                                   // 00000000E6F8: BEFE0114
	global_atomic_add_f32 v6, v194, s[8:9] offset:8            // 00000000E6FC: DD348008 0008C206
	global_atomic_add_f32 v6, v198, s[8:9] offset:264          // 00000000E704: DD348108 0008C606
	global_atomic_add_f32 v6, v202, s[8:9] offset:520          // 00000000E70C: DD348208 0008CA06
	global_atomic_add_f32 v6, v206, s[8:9] offset:776          // 00000000E714: DD348308 0008CE06
	s_mov_b64 exec, s[36:37]                                   // 00000000E71C: BEFE0124
	v_mov_b32_e32 v6, v55                                      // 00000000E720: 7E0C0337
	s_mov_b64 s[60:61], 0                                      // 00000000E724: BEBC0180
	v_readlane_b32 s82, v3, 14                                 // 00000000E728: D2890052 00011D03
	s_and_b32 s82, s82, 0xffffff                               // 00000000E730: 8652FF52 00FFFFFF
	s_cmp_lt_u32 s82, s66                                      // 00000000E738: BF0A4252
	s_cselect_b32 s20, s36, s60                                // 00000000E73C: 85143C24
	v_readlane_b32 s82, v3, 15                                 // 00000000E740: D2890052 00011F03
	s_and_b32 s82, s82, 0xffffff                               // 00000000E748: 8652FF52 00FFFFFF
	s_cmp_lt_u32 s82, s66                                      // 00000000E750: BF0A4252
	s_cselect_b32 s21, s36, s60                                // 00000000E754: 85153C24
	s_mov_b64 exec, s[20:21]                                   // 00000000E758: BEFE0114
	global_atomic_add_f32 v6, v195, s[8:9] offset:8            // 00000000E75C: DD348008 0008C306
	global_atomic_add_f32 v6, v199, s[8:9] offset:264          // 00000000E764: DD348108 0008C706
	global_atomic_add_f32 v6, v203, s[8:9] offset:520          // 00000000E76C: DD348208 0008CB06
	global_atomic_add_f32 v6, v207, s[8:9] offset:776          // 00000000E774: DD348308 0008CF06
	s_mov_b64 exec, s[36:37]                                   // 00000000E77C: BEFE0124
	v_mov_b32_e32 v6, v56                                      // 00000000E780: 7E0C0338
	s_mov_b64 s[60:61], 0                                      // 00000000E784: BEBC0180
	v_readlane_b32 s82, v3, 16                                 // 00000000E788: D2890052 00012103
	s_and_b32 s82, s82, 0xffffff                               // 00000000E790: 8652FF52 00FFFFFF
	s_cmp_lt_u32 s82, s66                                      // 00000000E798: BF0A4252
	s_cselect_b32 s20, s36, s60                                // 00000000E79C: 85143C24
	v_readlane_b32 s82, v3, 17                                 // 00000000E7A0: D2890052 00012303
	s_and_b32 s82, s82, 0xffffff                               // 00000000E7A8: 8652FF52 00FFFFFF
	s_cmp_lt_u32 s82, s66                                      // 00000000E7B0: BF0A4252
	s_cselect_b32 s21, s36, s60                                // 00000000E7B4: 85153C24
	s_mov_b64 exec, s[20:21]                                   // 00000000E7B8: BEFE0114
	global_atomic_add_f32 v6, v210, s[8:9] offset:8            // 00000000E7BC: DD348008 0008D206
	global_atomic_add_f32 v6, v214, s[8:9] offset:264          // 00000000E7C4: DD348108 0008D606
	global_atomic_add_f32 v6, v218, s[8:9] offset:520          // 00000000E7CC: DD348208 0008DA06
	global_atomic_add_f32 v6, v222, s[8:9] offset:776          // 00000000E7D4: DD348308 0008DE06
	s_mov_b64 exec, s[36:37]                                   // 00000000E7DC: BEFE0124
	v_mov_b32_e32 v6, v57                                      // 00000000E7E0: 7E0C0339
	s_mov_b64 s[60:61], 0                                      // 00000000E7E4: BEBC0180
	v_readlane_b32 s82, v3, 18                                 // 00000000E7E8: D2890052 00012503
	s_and_b32 s82, s82, 0xffffff                               // 00000000E7F0: 8652FF52 00FFFFFF
	s_cmp_lt_u32 s82, s66                                      // 00000000E7F8: BF0A4252
	s_cselect_b32 s20, s36, s60                                // 00000000E7FC: 85143C24
	v_readlane_b32 s82, v3, 19                                 // 00000000E800: D2890052 00012703
	s_and_b32 s82, s82, 0xffffff                               // 00000000E808: 8652FF52 00FFFFFF
	s_cmp_lt_u32 s82, s66                                      // 00000000E810: BF0A4252
	s_cselect_b32 s21, s36, s60                                // 00000000E814: 85153C24
	s_mov_b64 exec, s[20:21]                                   // 00000000E818: BEFE0114
	global_atomic_add_f32 v6, v211, s[8:9] offset:8            // 00000000E81C: DD348008 0008D306
	global_atomic_add_f32 v6, v215, s[8:9] offset:264          // 00000000E824: DD348108 0008D706
	global_atomic_add_f32 v6, v219, s[8:9] offset:520          // 00000000E82C: DD348208 0008DB06
	global_atomic_add_f32 v6, v223, s[8:9] offset:776          // 00000000E834: DD348308 0008DF06
	s_mov_b64 exec, s[36:37]                                   // 00000000E83C: BEFE0124
	s_branch label_2F94                                        // 00000000E840: BF820000

000000000000e844 <label_2F94>:
	s_waitcnt vmcnt(0) expcnt(0) lgkmcnt(0)                    // 00000000E844: BF8C0000
	s_endpgm                                                   // 00000000E848: BF810000
